;; amdgpu-corpus repo=ROCm/rocFFT kind=compiled arch=gfx906 opt=O3
	.text
	.amdgcn_target "amdgcn-amd-amdhsa--gfx906"
	.amdhsa_code_object_version 6
	.protected	fft_rtc_back_len2401_factors_7_7_7_7_wgs_49_tpt_49_halfLds_dp_op_CI_CI_unitstride_sbrr_dirReg ; -- Begin function fft_rtc_back_len2401_factors_7_7_7_7_wgs_49_tpt_49_halfLds_dp_op_CI_CI_unitstride_sbrr_dirReg
	.globl	fft_rtc_back_len2401_factors_7_7_7_7_wgs_49_tpt_49_halfLds_dp_op_CI_CI_unitstride_sbrr_dirReg
	.p2align	8
	.type	fft_rtc_back_len2401_factors_7_7_7_7_wgs_49_tpt_49_halfLds_dp_op_CI_CI_unitstride_sbrr_dirReg,@function
fft_rtc_back_len2401_factors_7_7_7_7_wgs_49_tpt_49_halfLds_dp_op_CI_CI_unitstride_sbrr_dirReg: ; @fft_rtc_back_len2401_factors_7_7_7_7_wgs_49_tpt_49_halfLds_dp_op_CI_CI_unitstride_sbrr_dirReg
; %bb.0:
	s_load_dwordx4 s[8:11], s[4:5], 0x58
	s_load_dwordx4 s[12:15], s[4:5], 0x0
	;; [unrolled: 1-line block ×3, first 2 shown]
	s_mov_b64 s[38:39], s[2:3]
	s_mov_b64 s[36:37], s[0:1]
	v_mul_u32_u24_e32 v1, 0x53a, v0
	s_waitcnt lgkmcnt(0)
	v_cmp_lt_u64_e64 s[0:1], s[14:15], 2
	s_add_u32 s36, s36, s7
	v_add_u32_sdwa v6, s6, v1 dst_sel:DWORD dst_unused:UNUSED_PAD src0_sel:DWORD src1_sel:WORD_1
	v_mov_b32_e32 v1, 0
	v_mov_b32_e32 v4, 0
	s_addc_u32 s37, s37, 0
	v_mov_b32_e32 v7, v1
	s_and_b64 vcc, exec, s[0:1]
	v_mov_b32_e32 v5, 0
	s_cbranch_vccnz .LBB0_8
; %bb.1:
	s_load_dwordx2 s[0:1], s[4:5], 0x10
	s_add_u32 s2, s18, 8
	s_addc_u32 s3, s19, 0
	s_add_u32 s6, s16, 8
	v_mov_b32_e32 v4, 0
	s_addc_u32 s7, s17, 0
	v_mov_b32_e32 v5, 0
	s_waitcnt lgkmcnt(0)
	s_add_u32 s20, s0, 8
	v_mov_b32_e32 v197, v5
	s_addc_u32 s21, s1, 0
	s_mov_b64 s[22:23], 1
	v_mov_b32_e32 v196, v4
.LBB0_2:                                ; =>This Inner Loop Header: Depth=1
	s_load_dwordx2 s[24:25], s[20:21], 0x0
                                        ; implicit-def: $vgpr198_vgpr199
	s_waitcnt lgkmcnt(0)
	v_or_b32_e32 v2, s25, v7
	v_cmp_ne_u64_e32 vcc, 0, v[1:2]
	s_and_saveexec_b64 s[0:1], vcc
	s_xor_b64 s[26:27], exec, s[0:1]
	s_cbranch_execz .LBB0_4
; %bb.3:                                ;   in Loop: Header=BB0_2 Depth=1
	v_cvt_f32_u32_e32 v2, s24
	v_cvt_f32_u32_e32 v3, s25
	s_sub_u32 s0, 0, s24
	s_subb_u32 s1, 0, s25
	v_mac_f32_e32 v2, 0x4f800000, v3
	v_rcp_f32_e32 v2, v2
	v_mul_f32_e32 v2, 0x5f7ffffc, v2
	v_mul_f32_e32 v3, 0x2f800000, v2
	v_trunc_f32_e32 v3, v3
	v_mac_f32_e32 v2, 0xcf800000, v3
	v_cvt_u32_f32_e32 v3, v3
	v_cvt_u32_f32_e32 v2, v2
	v_mul_lo_u32 v8, s0, v3
	v_mul_hi_u32 v9, s0, v2
	v_mul_lo_u32 v11, s1, v2
	v_mul_lo_u32 v10, s0, v2
	v_add_u32_e32 v8, v9, v8
	v_add_u32_e32 v8, v8, v11
	v_mul_hi_u32 v9, v2, v10
	v_mul_lo_u32 v11, v2, v8
	v_mul_hi_u32 v13, v2, v8
	v_mul_hi_u32 v12, v3, v10
	v_mul_lo_u32 v10, v3, v10
	v_mul_hi_u32 v14, v3, v8
	v_add_co_u32_e32 v9, vcc, v9, v11
	v_addc_co_u32_e32 v11, vcc, 0, v13, vcc
	v_mul_lo_u32 v8, v3, v8
	v_add_co_u32_e32 v9, vcc, v9, v10
	v_addc_co_u32_e32 v9, vcc, v11, v12, vcc
	v_addc_co_u32_e32 v10, vcc, 0, v14, vcc
	v_add_co_u32_e32 v8, vcc, v9, v8
	v_addc_co_u32_e32 v9, vcc, 0, v10, vcc
	v_add_co_u32_e32 v2, vcc, v2, v8
	v_addc_co_u32_e32 v3, vcc, v3, v9, vcc
	v_mul_lo_u32 v8, s0, v3
	v_mul_hi_u32 v9, s0, v2
	v_mul_lo_u32 v10, s1, v2
	v_mul_lo_u32 v11, s0, v2
	v_add_u32_e32 v8, v9, v8
	v_add_u32_e32 v8, v8, v10
	v_mul_lo_u32 v12, v2, v8
	v_mul_hi_u32 v13, v2, v11
	v_mul_hi_u32 v14, v2, v8
	;; [unrolled: 1-line block ×3, first 2 shown]
	v_mul_lo_u32 v11, v3, v11
	v_mul_hi_u32 v9, v3, v8
	v_add_co_u32_e32 v12, vcc, v13, v12
	v_addc_co_u32_e32 v13, vcc, 0, v14, vcc
	v_mul_lo_u32 v8, v3, v8
	v_add_co_u32_e32 v11, vcc, v12, v11
	v_addc_co_u32_e32 v10, vcc, v13, v10, vcc
	v_addc_co_u32_e32 v9, vcc, 0, v9, vcc
	v_add_co_u32_e32 v8, vcc, v10, v8
	v_addc_co_u32_e32 v9, vcc, 0, v9, vcc
	v_add_co_u32_e32 v8, vcc, v2, v8
	v_addc_co_u32_e32 v9, vcc, v3, v9, vcc
	v_mad_u64_u32 v[2:3], s[0:1], v6, v9, 0
	v_mul_hi_u32 v10, v6, v8
	v_add_co_u32_e32 v10, vcc, v10, v2
	v_addc_co_u32_e32 v11, vcc, 0, v3, vcc
	v_mad_u64_u32 v[2:3], s[0:1], v7, v8, 0
	v_mad_u64_u32 v[8:9], s[0:1], v7, v9, 0
	v_add_co_u32_e32 v2, vcc, v10, v2
	v_addc_co_u32_e32 v2, vcc, v11, v3, vcc
	v_addc_co_u32_e32 v3, vcc, 0, v9, vcc
	v_add_co_u32_e32 v8, vcc, v2, v8
	v_addc_co_u32_e32 v9, vcc, 0, v3, vcc
	v_mul_lo_u32 v10, s25, v8
	v_mul_lo_u32 v11, s24, v9
	v_mad_u64_u32 v[2:3], s[0:1], s24, v8, 0
	v_add3_u32 v3, v3, v11, v10
	v_sub_u32_e32 v10, v7, v3
	v_mov_b32_e32 v11, s25
	v_sub_co_u32_e32 v2, vcc, v6, v2
	v_subb_co_u32_e64 v10, s[0:1], v10, v11, vcc
	v_subrev_co_u32_e64 v11, s[0:1], s24, v2
	v_subbrev_co_u32_e64 v10, s[0:1], 0, v10, s[0:1]
	v_cmp_le_u32_e64 s[0:1], s25, v10
	v_cndmask_b32_e64 v12, 0, -1, s[0:1]
	v_cmp_le_u32_e64 s[0:1], s24, v11
	v_cndmask_b32_e64 v11, 0, -1, s[0:1]
	v_cmp_eq_u32_e64 s[0:1], s25, v10
	v_cndmask_b32_e64 v10, v12, v11, s[0:1]
	v_add_co_u32_e64 v11, s[0:1], 2, v8
	v_addc_co_u32_e64 v12, s[0:1], 0, v9, s[0:1]
	v_add_co_u32_e64 v13, s[0:1], 1, v8
	v_addc_co_u32_e64 v14, s[0:1], 0, v9, s[0:1]
	v_subb_co_u32_e32 v3, vcc, v7, v3, vcc
	v_cmp_ne_u32_e64 s[0:1], 0, v10
	v_cmp_le_u32_e32 vcc, s25, v3
	v_cndmask_b32_e64 v10, v14, v12, s[0:1]
	v_cndmask_b32_e64 v12, 0, -1, vcc
	v_cmp_le_u32_e32 vcc, s24, v2
	v_cndmask_b32_e64 v2, 0, -1, vcc
	v_cmp_eq_u32_e32 vcc, s25, v3
	v_cndmask_b32_e32 v2, v12, v2, vcc
	v_cmp_ne_u32_e32 vcc, 0, v2
	v_cndmask_b32_e64 v2, v13, v11, s[0:1]
	v_cndmask_b32_e32 v199, v9, v10, vcc
	v_cndmask_b32_e32 v198, v8, v2, vcc
.LBB0_4:                                ;   in Loop: Header=BB0_2 Depth=1
	s_andn2_saveexec_b64 s[0:1], s[26:27]
	s_cbranch_execz .LBB0_6
; %bb.5:                                ;   in Loop: Header=BB0_2 Depth=1
	v_cvt_f32_u32_e32 v2, s24
	s_sub_i32 s26, 0, s24
	v_mov_b32_e32 v199, v1
	v_rcp_iflag_f32_e32 v2, v2
	v_mul_f32_e32 v2, 0x4f7ffffe, v2
	v_cvt_u32_f32_e32 v2, v2
	v_mul_lo_u32 v3, s26, v2
	v_mul_hi_u32 v3, v2, v3
	v_add_u32_e32 v2, v2, v3
	v_mul_hi_u32 v2, v6, v2
	v_mul_lo_u32 v3, v2, s24
	v_add_u32_e32 v8, 1, v2
	v_sub_u32_e32 v3, v6, v3
	v_subrev_u32_e32 v9, s24, v3
	v_cmp_le_u32_e32 vcc, s24, v3
	v_cndmask_b32_e32 v3, v3, v9, vcc
	v_cndmask_b32_e32 v2, v2, v8, vcc
	v_add_u32_e32 v8, 1, v2
	v_cmp_le_u32_e32 vcc, s24, v3
	v_cndmask_b32_e32 v198, v2, v8, vcc
.LBB0_6:                                ;   in Loop: Header=BB0_2 Depth=1
	s_or_b64 exec, exec, s[0:1]
	v_mul_lo_u32 v8, v199, s24
	v_mul_lo_u32 v9, v198, s25
	v_mad_u64_u32 v[2:3], s[0:1], v198, s24, 0
	s_load_dwordx2 s[0:1], s[6:7], 0x0
	s_load_dwordx2 s[24:25], s[2:3], 0x0
	v_add3_u32 v3, v3, v9, v8
	v_sub_co_u32_e32 v2, vcc, v6, v2
	v_subb_co_u32_e32 v3, vcc, v7, v3, vcc
	s_waitcnt lgkmcnt(0)
	v_mul_lo_u32 v6, s0, v3
	v_mul_lo_u32 v7, s1, v2
	v_mad_u64_u32 v[4:5], s[0:1], s0, v2, v[4:5]
	v_mul_lo_u32 v3, s24, v3
	v_mul_lo_u32 v8, s25, v2
	v_mad_u64_u32 v[196:197], s[0:1], s24, v2, v[196:197]
	s_add_u32 s22, s22, 1
	s_addc_u32 s23, s23, 0
	s_add_u32 s2, s2, 8
	v_add3_u32 v197, v8, v197, v3
	s_addc_u32 s3, s3, 0
	v_mov_b32_e32 v2, s14
	s_add_u32 s6, s6, 8
	v_mov_b32_e32 v3, s15
	s_addc_u32 s7, s7, 0
	v_cmp_ge_u64_e32 vcc, s[22:23], v[2:3]
	s_add_u32 s20, s20, 8
	v_add3_u32 v5, v7, v5, v6
	s_addc_u32 s21, s21, 0
	s_cbranch_vccnz .LBB0_9
; %bb.7:                                ;   in Loop: Header=BB0_2 Depth=1
	v_mov_b32_e32 v6, v198
	v_mov_b32_e32 v7, v199
	s_branch .LBB0_2
.LBB0_8:
	v_mov_b32_e32 v197, v5
	v_mov_b32_e32 v199, v7
	;; [unrolled: 1-line block ×4, first 2 shown]
.LBB0_9:
	s_load_dwordx2 s[2:3], s[4:5], 0x28
	s_lshl_b64 s[4:5], s[14:15], 3
	s_add_u32 s26, s18, s4
	s_addc_u32 s27, s19, s5
                                        ; implicit-def: $vgpr253
	s_waitcnt lgkmcnt(0)
	v_cmp_gt_u64_e64 s[0:1], s[2:3], v[198:199]
	v_cmp_le_u64_e32 vcc, s[2:3], v[198:199]
	s_and_saveexec_b64 s[2:3], vcc
	s_xor_b64 s[2:3], exec, s[2:3]
; %bb.10:
	s_mov_b32 s6, 0x539782a
	v_mul_hi_u32 v1, v0, s6
                                        ; implicit-def: $vgpr4_vgpr5
	v_mul_u32_u24_e32 v1, 49, v1
	v_sub_u32_e32 v253, v0, v1
                                        ; implicit-def: $vgpr0
; %bb.11:
	s_or_saveexec_b64 s[2:3], s[2:3]
                                        ; implicit-def: $vgpr46_vgpr47
                                        ; implicit-def: $vgpr38_vgpr39
                                        ; implicit-def: $vgpr26_vgpr27
                                        ; implicit-def: $vgpr22_vgpr23
                                        ; implicit-def: $vgpr30_vgpr31
                                        ; implicit-def: $vgpr18_vgpr19
                                        ; implicit-def: $vgpr6_vgpr7
                                        ; implicit-def: $vgpr50_vgpr51
                                        ; implicit-def: $vgpr98_vgpr99
                                        ; implicit-def: $vgpr94_vgpr95
                                        ; implicit-def: $vgpr14_vgpr15
                                        ; implicit-def: $vgpr90_vgpr91
                                        ; implicit-def: $vgpr86_vgpr87
                                        ; implicit-def: $vgpr2_vgpr3
                                        ; implicit-def: $vgpr78_vgpr79
                                        ; implicit-def: $vgpr138_vgpr139
                                        ; implicit-def: $vgpr134_vgpr135
                                        ; implicit-def: $vgpr58_vgpr59
                                        ; implicit-def: $vgpr130_vgpr131
                                        ; implicit-def: $vgpr42_vgpr43
                                        ; implicit-def: $vgpr10_vgpr11
                                        ; implicit-def: $vgpr74_vgpr75
                                        ; implicit-def: $vgpr162_vgpr163
                                        ; implicit-def: $vgpr158_vgpr159
                                        ; implicit-def: $vgpr54_vgpr55
                                        ; implicit-def: $vgpr154_vgpr155
                                        ; implicit-def: $vgpr82_vgpr83
                                        ; implicit-def: $vgpr34_vgpr35
                                        ; implicit-def: $vgpr122_vgpr123
                                        ; implicit-def: $vgpr174_vgpr175
                                        ; implicit-def: $vgpr170_vgpr171
                                        ; implicit-def: $vgpr110_vgpr111
                                        ; implicit-def: $vgpr166_vgpr167
                                        ; implicit-def: $vgpr66_vgpr67
                                        ; implicit-def: $vgpr70_vgpr71
                                        ; implicit-def: $vgpr114_vgpr115
                                        ; implicit-def: $vgpr182_vgpr183
                                        ; implicit-def: $vgpr178_vgpr179
                                        ; implicit-def: $vgpr106_vgpr107
                                        ; implicit-def: $vgpr102_vgpr103
                                        ; implicit-def: $vgpr118_vgpr119
                                        ; implicit-def: $vgpr62_vgpr63
                                        ; implicit-def: $vgpr150_vgpr151
                                        ; implicit-def: $vgpr194_vgpr195
                                        ; implicit-def: $vgpr190_vgpr191
                                        ; implicit-def: $vgpr146_vgpr147
                                        ; implicit-def: $vgpr142_vgpr143
                                        ; implicit-def: $vgpr186_vgpr187
                                        ; implicit-def: $vgpr126_vgpr127
	s_xor_b64 exec, exec, s[2:3]
	s_cbranch_execz .LBB0_13
; %bb.12:
	s_add_u32 s4, s16, s4
	s_addc_u32 s5, s17, s5
	s_load_dwordx2 s[4:5], s[4:5], 0x0
	s_mov_b32 s6, 0x539782a
	v_mul_hi_u32 v3, v0, s6
	s_waitcnt lgkmcnt(0)
	v_mul_lo_u32 v6, s5, v198
	v_mul_lo_u32 v7, s4, v199
	v_mad_u64_u32 v[1:2], s[4:5], s4, v198, 0
	v_mul_u32_u24_e32 v3, 49, v3
	v_sub_u32_e32 v253, v0, v3
	v_add3_u32 v2, v2, v7, v6
	v_lshlrev_b64 v[0:1], 4, v[1:2]
	v_mov_b32_e32 v2, s9
	v_add_co_u32_e32 v3, vcc, s8, v0
	v_addc_co_u32_e32 v2, vcc, v2, v1, vcc
	v_lshlrev_b64 v[0:1], 4, v[4:5]
	s_movk_i32 s4, 0x1000
	v_add_co_u32_e32 v0, vcc, v3, v0
	v_addc_co_u32_e32 v1, vcc, v2, v1, vcc
	v_lshlrev_b32_e32 v2, 4, v253
	v_add_co_u32_e32 v4, vcc, v0, v2
	v_addc_co_u32_e32 v5, vcc, 0, v1, vcc
	v_add_co_u32_e32 v16, vcc, s4, v4
	v_addc_co_u32_e32 v17, vcc, 0, v5, vcc
	s_movk_i32 s4, 0x2000
	v_add_co_u32_e32 v18, vcc, s4, v4
	v_addc_co_u32_e32 v19, vcc, 0, v5, vcc
	s_movk_i32 s4, 0x4000
	;; [unrolled: 3-line block ×4, first 2 shown]
	v_add_co_u32_e32 v26, vcc, s4, v4
	v_addc_co_u32_e32 v27, vcc, 0, v5, vcc
	s_mov_b32 s4, 0x8000
	v_add_co_u32_e32 v20, vcc, s4, v4
	v_addc_co_u32_e32 v21, vcc, 0, v5, vcc
	s_movk_i32 s4, 0x3000
	v_add_co_u32_e32 v28, vcc, s4, v4
	v_addc_co_u32_e32 v29, vcc, 0, v5, vcc
	s_movk_i32 s4, 0x7000
	v_add_co_u32_e32 v36, vcc, s4, v4
	v_addc_co_u32_e32 v37, vcc, 0, v5, vcc
	v_add_co_u32_e32 v44, vcc, 0x9000, v4
	v_addc_co_u32_e32 v45, vcc, 0, v5, vcc
	global_load_dwordx4 v[124:127], v[4:5], off
	global_load_dwordx4 v[60:63], v[4:5], off offset:784
	global_load_dwordx4 v[140:143], v[18:19], off offset:2784
	;; [unrolled: 1-line block ×24, first 2 shown]
	s_nop 0
	global_load_dwordx4 v[4:7], v[16:17], off offset:608
	global_load_dwordx4 v[84:87], v[18:19], off offset:1216
                                        ; kill: killed $vgpr16 killed $vgpr17
	s_nop 0
	global_load_dwordx4 v[16:19], v[18:19], off offset:2000
	s_nop 0
	global_load_dwordx4 v[164:167], v[28:29], off offset:256
	global_load_dwordx4 v[152:155], v[28:29], off offset:1040
	;; [unrolled: 1-line block ×13, first 2 shown]
	s_nop 0
	global_load_dwordx4 v[24:27], v[26:27], off offset:2080
	s_nop 0
	global_load_dwordx4 v[28:31], v[28:29], off offset:3392
	;; [unrolled: 2-line block ×3, first 2 shown]
	global_load_dwordx4 v[160:163], v[36:37], off offset:1120
	global_load_dwordx4 v[136:139], v[36:37], off offset:1904
	;; [unrolled: 1-line block ×3, first 2 shown]
	s_nop 0
	global_load_dwordx4 v[36:39], v[36:37], off offset:3472
	s_nop 0
	global_load_dwordx4 v[44:47], v[44:45], off offset:768
.LBB0_13:
	s_or_b64 exec, exec, s[2:3]
	s_waitcnt vmcnt(24)
	v_add_f64 v[201:202], v[148:149], v[184:185]
	v_add_f64 v[203:204], v[150:151], v[186:187]
	v_add_f64 v[148:149], v[184:185], -v[148:149]
	v_add_f64 v[150:151], v[186:187], -v[150:151]
	s_waitcnt vmcnt(12)
	v_add_f64 v[184:185], v[192:193], v[140:141]
	v_add_f64 v[186:187], v[194:195], v[142:143]
	v_add_f64 v[140:141], v[140:141], -v[192:193]
	v_add_f64 v[142:143], v[142:143], -v[194:195]
	v_add_f64 v[192:193], v[188:189], v[144:145]
	v_add_f64 v[194:195], v[190:191], v[146:147]
	v_add_f64 v[144:145], v[188:189], -v[144:145]
	v_add_f64 v[146:147], v[190:191], -v[146:147]
	;; [unrolled: 4-line block ×3, first 2 shown]
	v_add_f64 v[201:202], v[201:202], -v[192:193]
	v_add_f64 v[203:204], v[203:204], -v[194:195]
	;; [unrolled: 1-line block ×4, first 2 shown]
	v_add_f64 v[209:210], v[144:145], v[140:141]
	v_add_f64 v[211:212], v[146:147], v[142:143]
	v_add_f64 v[213:214], v[144:145], -v[140:141]
	v_add_f64 v[215:216], v[146:147], -v[142:143]
	v_add_f64 v[188:189], v[192:193], v[188:189]
	v_add_f64 v[190:191], v[194:195], v[190:191]
	v_add_f64 v[140:141], v[140:141], -v[148:149]
	v_add_f64 v[142:143], v[142:143], -v[150:151]
	s_mov_b32 s4, 0x37e14327
	s_mov_b32 s16, 0x36b3c0b5
	;; [unrolled: 1-line block ×8, first 2 shown]
	v_add_f64 v[144:145], v[148:149], -v[144:145]
	v_add_f64 v[146:147], v[150:151], -v[146:147]
	v_add_f64 v[192:193], v[209:210], v[148:149]
	v_add_f64 v[150:151], v[211:212], v[150:151]
	v_add_f64 v[148:149], v[124:125], v[188:189]
	v_add_f64 v[124:125], v[126:127], v[190:191]
	v_mul_f64 v[126:127], v[201:202], s[4:5]
	v_mul_f64 v[194:195], v[203:204], s[4:5]
	;; [unrolled: 1-line block ×8, first 2 shown]
	s_mov_b32 s20, 0xaaaaaaaa
	s_mov_b32 s6, 0x5476071b
	;; [unrolled: 1-line block ×10, first 2 shown]
	v_fma_f64 v[188:189], v[188:189], s[20:21], v[148:149]
	v_fma_f64 v[190:191], v[190:191], s[20:21], v[124:125]
	;; [unrolled: 1-line block ×4, first 2 shown]
	v_fma_f64 v[201:202], v[205:206], s[6:7], -v[201:202]
	v_fma_f64 v[203:204], v[207:208], s[6:7], -v[203:204]
	;; [unrolled: 1-line block ×4, first 2 shown]
	v_fma_f64 v[205:206], v[144:145], s[24:25], v[209:210]
	v_fma_f64 v[207:208], v[146:147], s[24:25], v[211:212]
	v_fma_f64 v[140:141], v[140:141], s[2:3], -v[209:210]
	v_fma_f64 v[142:143], v[142:143], s[2:3], -v[211:212]
	;; [unrolled: 1-line block ×4, first 2 shown]
	s_mov_b32 s14, 0x37c3f68c
	s_mov_b32 s15, 0xbfdc38aa
	v_add_f64 v[211:212], v[186:187], v[190:191]
	v_add_f64 v[201:202], v[201:202], v[188:189]
	v_add_f64 v[203:204], v[203:204], v[190:191]
	v_add_f64 v[213:214], v[126:127], v[188:189]
	v_add_f64 v[194:195], v[194:195], v[190:191]
	v_fma_f64 v[146:147], v[150:151], s[14:15], v[146:147]
	v_fma_f64 v[215:216], v[192:193], s[14:15], v[144:145]
	;; [unrolled: 1-line block ×4, first 2 shown]
	v_add_f64 v[209:210], v[184:185], v[188:189]
	v_fma_f64 v[205:206], v[192:193], s[14:15], v[205:206]
	v_add_f64 v[192:193], v[112:113], v[116:117]
	v_add_f64 v[112:113], v[116:117], -v[112:113]
	v_add_f64 v[184:185], v[146:147], v[213:214]
	v_add_f64 v[140:141], v[194:195], -v[215:216]
	v_add_f64 v[186:187], v[201:202], -v[144:145]
	v_add_f64 v[142:143], v[190:191], v[203:204]
	v_add_f64 v[188:189], v[144:145], v[201:202]
	v_add_f64 v[144:145], v[203:204], -v[190:191]
	v_add_f64 v[190:191], v[213:214], -v[146:147]
	v_add_f64 v[146:147], v[215:216], v[194:195]
	v_add_f64 v[194:195], v[114:115], v[118:119]
	v_add_f64 v[114:115], v[118:119], -v[114:115]
	s_waitcnt vmcnt(11)
	v_add_f64 v[116:117], v[180:181], v[100:101]
	v_add_f64 v[118:119], v[182:183], v[102:103]
	v_add_f64 v[100:101], v[100:101], -v[180:181]
	v_add_f64 v[102:103], v[102:103], -v[182:183]
	v_add_f64 v[180:181], v[176:177], v[104:105]
	v_add_f64 v[182:183], v[178:179], v[106:107]
	v_add_f64 v[104:105], v[176:177], -v[104:105]
	v_add_f64 v[106:107], v[178:179], -v[106:107]
	;; [unrolled: 4-line block ×3, first 2 shown]
	v_add_f64 v[192:193], v[192:193], -v[180:181]
	v_add_f64 v[194:195], v[194:195], -v[182:183]
	;; [unrolled: 1-line block ×4, first 2 shown]
	v_add_f64 v[213:214], v[104:105], v[100:101]
	v_add_f64 v[215:216], v[106:107], v[102:103]
	v_add_f64 v[217:218], v[104:105], -v[100:101]
	v_add_f64 v[219:220], v[106:107], -v[102:103]
	v_add_f64 v[176:177], v[180:181], v[176:177]
	v_add_f64 v[178:179], v[182:183], v[178:179]
	v_add_f64 v[102:103], v[102:103], -v[114:115]
	v_add_f64 v[104:105], v[112:113], -v[104:105]
	;; [unrolled: 1-line block ×4, first 2 shown]
	v_add_f64 v[112:113], v[213:214], v[112:113]
	v_add_f64 v[114:115], v[215:216], v[114:115]
	;; [unrolled: 1-line block ×4, first 2 shown]
	v_mul_f64 v[62:63], v[192:193], s[4:5]
	v_mul_f64 v[182:183], v[194:195], s[4:5]
	;; [unrolled: 1-line block ×8, first 2 shown]
	v_fma_f64 v[176:177], v[176:177], s[20:21], v[60:61]
	v_fma_f64 v[178:179], v[178:179], s[20:21], v[100:101]
	;; [unrolled: 1-line block ×4, first 2 shown]
	v_fma_f64 v[192:193], v[201:202], s[6:7], -v[192:193]
	v_fma_f64 v[194:195], v[203:204], s[6:7], -v[194:195]
	;; [unrolled: 1-line block ×4, first 2 shown]
	v_fma_f64 v[203:204], v[106:107], s[24:25], v[215:216]
	v_fma_f64 v[180:181], v[180:181], s[2:3], -v[213:214]
	v_fma_f64 v[102:103], v[102:103], s[2:3], -v[215:216]
	;; [unrolled: 1-line block ×3, first 2 shown]
	v_fma_f64 v[201:202], v[104:105], s[24:25], v[213:214]
	v_fma_f64 v[104:105], v[104:105], s[22:23], -v[217:218]
	v_add_f64 v[213:214], v[116:117], v[176:177]
	v_add_f64 v[116:117], v[192:193], v[176:177]
	;; [unrolled: 1-line block ×4, first 2 shown]
	v_fma_f64 v[203:204], v[114:115], s[14:15], v[203:204]
	v_fma_f64 v[217:218], v[114:115], s[14:15], v[106:107]
	;; [unrolled: 1-line block ×4, first 2 shown]
	v_add_f64 v[126:127], v[211:212], -v[205:206]
	v_add_f64 v[215:216], v[182:183], v[178:179]
	v_fma_f64 v[201:202], v[112:113], s[14:15], v[201:202]
	v_fma_f64 v[219:220], v[112:113], s[14:15], v[104:105]
	v_add_f64 v[104:105], v[205:206], v[211:212]
	v_add_f64 v[62:63], v[217:218], v[194:195]
	v_add_f64 v[182:183], v[116:117], -v[114:115]
	v_add_f64 v[112:113], v[221:222], v[192:193]
	v_add_f64 v[180:181], v[114:115], v[116:117]
	v_add_f64 v[114:115], v[192:193], -v[221:222]
	v_add_f64 v[192:193], v[194:195], -v[217:218]
	v_add_f64 v[194:195], v[120:121], v[64:65]
	v_add_f64 v[205:206], v[122:123], v[66:67]
	v_add_f64 v[64:65], v[64:65], -v[120:121]
	v_add_f64 v[66:67], v[66:67], -v[122:123]
	s_waitcnt vmcnt(5)
	v_add_f64 v[120:121], v[172:173], v[164:165]
	v_add_f64 v[122:123], v[174:175], v[166:167]
	v_fma_f64 v[207:208], v[150:151], s[14:15], v[207:208]
	v_add_f64 v[164:165], v[164:165], -v[172:173]
	v_add_f64 v[166:167], v[166:167], -v[174:175]
	v_add_f64 v[172:173], v[168:169], v[108:109]
	v_add_f64 v[174:175], v[170:171], v[110:111]
	v_add_f64 v[108:109], v[168:169], -v[108:109]
	v_add_f64 v[110:111], v[170:171], -v[110:111]
	v_add_f64 v[168:169], v[120:121], v[194:195]
	v_add_f64 v[170:171], v[122:123], v[205:206]
	;; [unrolled: 1-line block ×4, first 2 shown]
	v_add_f64 v[178:179], v[209:210], -v[207:208]
	v_add_f64 v[106:107], v[215:216], -v[219:220]
	v_add_f64 v[116:117], v[219:220], v[215:216]
	v_add_f64 v[207:208], v[120:121], -v[194:195]
	v_add_f64 v[209:210], v[122:123], -v[205:206]
	;; [unrolled: 1-line block ×6, first 2 shown]
	v_add_f64 v[211:212], v[108:109], v[164:165]
	v_add_f64 v[215:216], v[110:111], v[166:167]
	v_add_f64 v[219:220], v[110:111], -v[166:167]
	v_add_f64 v[168:169], v[172:173], v[168:169]
	v_add_f64 v[170:171], v[174:175], v[170:171]
	v_add_f64 v[166:167], v[166:167], -v[66:67]
	v_add_f64 v[217:218], v[108:109], -v[164:165]
	;; [unrolled: 1-line block ×5, first 2 shown]
	v_add_f64 v[174:175], v[211:212], v[64:65]
	v_add_f64 v[66:67], v[215:216], v[66:67]
	;; [unrolled: 1-line block ×4, first 2 shown]
	v_mul_f64 v[68:69], v[194:195], s[4:5]
	v_mul_f64 v[70:71], v[205:206], s[4:5]
	;; [unrolled: 1-line block ×8, first 2 shown]
	v_fma_f64 v[168:169], v[168:169], s[20:21], v[64:65]
	v_fma_f64 v[120:121], v[120:121], s[16:17], v[68:69]
	;; [unrolled: 1-line block ×3, first 2 shown]
	v_fma_f64 v[194:195], v[207:208], s[6:7], -v[194:195]
	v_fma_f64 v[205:206], v[209:210], s[6:7], -v[205:206]
	;; [unrolled: 1-line block ×4, first 2 shown]
	v_fma_f64 v[209:210], v[110:111], s[24:25], v[215:216]
	v_fma_f64 v[166:167], v[166:167], s[2:3], -v[215:216]
	v_fma_f64 v[110:111], v[110:111], s[22:23], -v[219:220]
	v_fma_f64 v[170:171], v[170:171], s[20:21], v[108:109]
	v_fma_f64 v[207:208], v[172:173], s[24:25], v[211:212]
	v_fma_f64 v[164:165], v[164:165], s[2:3], -v[211:212]
	v_fma_f64 v[172:173], v[172:173], s[22:23], -v[217:218]
	v_add_f64 v[211:212], v[120:121], v[168:169]
	v_add_f64 v[194:195], v[194:195], v[168:169]
	v_add_f64 v[168:169], v[68:69], v[168:169]
	v_fma_f64 v[219:220], v[66:67], s[14:15], v[110:111]
	v_fma_f64 v[166:167], v[66:67], s[14:15], v[166:167]
	v_add_f64 v[215:216], v[122:123], v[170:171]
	v_add_f64 v[205:206], v[205:206], v[170:171]
	;; [unrolled: 1-line block ×3, first 2 shown]
	v_fma_f64 v[209:210], v[66:67], s[14:15], v[209:210]
	v_fma_f64 v[207:208], v[174:175], s[14:15], v[207:208]
	;; [unrolled: 1-line block ×4, first 2 shown]
	v_add_f64 v[66:67], v[219:220], v[168:169]
	v_add_f64 v[172:173], v[194:195], -v[166:167]
	v_add_f64 v[170:171], v[166:167], v[194:195]
	v_add_f64 v[174:175], v[168:169], -v[219:220]
	v_add_f64 v[168:169], v[72:73], v[80:81]
	v_add_f64 v[194:195], v[74:75], v[82:83]
	v_add_f64 v[72:73], v[80:81], -v[72:73]
	v_add_f64 v[74:75], v[82:83], -v[74:75]
	s_waitcnt vmcnt(4)
	v_add_f64 v[80:81], v[160:161], v[152:153]
	v_add_f64 v[82:83], v[162:163], v[154:155]
	v_add_f64 v[152:153], v[152:153], -v[160:161]
	v_add_f64 v[154:155], v[154:155], -v[162:163]
	v_add_f64 v[160:161], v[156:157], v[52:53]
	v_add_f64 v[162:163], v[158:159], v[54:55]
	v_add_f64 v[52:53], v[156:157], -v[52:53]
	v_add_f64 v[54:55], v[158:159], -v[54:55]
	v_add_f64 v[156:157], v[80:81], v[168:169]
	v_add_f64 v[158:159], v[82:83], v[194:195]
	;; [unrolled: 1-line block ×3, first 2 shown]
	v_add_f64 v[102:103], v[118:119], -v[201:202]
	v_add_f64 v[70:71], v[213:214], -v[203:204]
	v_add_f64 v[118:119], v[201:202], v[118:119]
	v_add_f64 v[120:121], v[217:218], -v[221:222]
	v_add_f64 v[122:123], v[164:165], v[205:206]
	;; [unrolled: 2-line block ×3, first 2 shown]
	v_add_f64 v[201:202], v[80:81], -v[168:169]
	v_add_f64 v[203:204], v[82:83], -v[194:195]
	;; [unrolled: 1-line block ×6, first 2 shown]
	v_add_f64 v[205:206], v[52:53], v[152:153]
	v_add_f64 v[213:214], v[54:55], v[154:155]
	v_add_f64 v[217:218], v[52:53], -v[152:153]
	v_add_f64 v[219:220], v[54:55], -v[154:155]
	v_add_f64 v[156:157], v[160:161], v[156:157]
	v_add_f64 v[158:159], v[162:163], v[158:159]
	v_add_f64 v[160:161], v[152:153], -v[72:73]
	v_add_f64 v[154:155], v[154:155], -v[74:75]
	;; [unrolled: 1-line block ×4, first 2 shown]
	v_add_f64 v[72:73], v[205:206], v[72:73]
	v_add_f64 v[74:75], v[213:214], v[74:75]
	;; [unrolled: 1-line block ×4, first 2 shown]
	v_mul_f64 v[34:35], v[168:169], s[4:5]
	v_mul_f64 v[162:163], v[194:195], s[4:5]
	;; [unrolled: 1-line block ×8, first 2 shown]
	v_fma_f64 v[156:157], v[156:157], s[20:21], v[32:33]
	v_fma_f64 v[158:159], v[158:159], s[20:21], v[152:153]
	v_fma_f64 v[80:81], v[80:81], s[16:17], v[34:35]
	v_fma_f64 v[82:83], v[82:83], s[16:17], v[162:163]
	v_fma_f64 v[168:169], v[201:202], s[6:7], -v[168:169]
	v_fma_f64 v[194:195], v[203:204], s[6:7], -v[194:195]
	;; [unrolled: 1-line block ×4, first 2 shown]
	v_fma_f64 v[201:202], v[52:53], s[24:25], v[205:206]
	v_fma_f64 v[203:204], v[54:55], s[24:25], v[213:214]
	v_fma_f64 v[160:161], v[160:161], s[2:3], -v[205:206]
	v_fma_f64 v[154:155], v[154:155], s[2:3], -v[213:214]
	;; [unrolled: 1-line block ×4, first 2 shown]
	v_add_f64 v[168:169], v[168:169], v[156:157]
	v_add_f64 v[194:195], v[194:195], v[158:159]
	;; [unrolled: 1-line block ×4, first 2 shown]
	v_fma_f64 v[203:204], v[74:75], s[14:15], v[203:204]
	v_fma_f64 v[201:202], v[72:73], s[14:15], v[201:202]
	v_fma_f64 v[52:53], v[72:73], s[14:15], v[52:53]
	v_fma_f64 v[54:55], v[74:75], s[14:15], v[54:55]
	v_fma_f64 v[74:75], v[74:75], s[14:15], v[154:155]
	v_fma_f64 v[72:73], v[72:73], s[14:15], v[160:161]
	v_add_f64 v[68:69], v[209:210], v[211:212]
	v_add_f64 v[82:83], v[82:83], v[158:159]
	v_add_f64 v[209:210], v[211:212], -v[209:210]
	v_add_f64 v[110:111], v[215:216], -v[207:208]
	;; [unrolled: 1-line block ×3, first 2 shown]
	v_add_f64 v[211:212], v[54:55], v[34:35]
	v_add_f64 v[213:214], v[168:169], -v[74:75]
	v_add_f64 v[160:161], v[72:73], v[194:195]
	v_add_f64 v[74:75], v[74:75], v[168:169]
	v_add_f64 v[162:163], v[194:195], -v[72:73]
	v_add_f64 v[34:35], v[34:35], -v[54:55]
	v_add_f64 v[168:169], v[52:53], v[205:206]
	v_add_f64 v[52:53], v[76:77], v[40:41]
	;; [unrolled: 1-line block ×3, first 2 shown]
	v_add_f64 v[40:41], v[40:41], -v[76:77]
	s_waitcnt vmcnt(3)
	v_add_f64 v[72:73], v[136:137], v[128:129]
	v_add_f64 v[76:77], v[138:139], v[130:131]
	v_add_f64 v[42:43], v[42:43], -v[78:79]
	v_add_f64 v[78:79], v[128:129], -v[136:137]
	;; [unrolled: 1-line block ×3, first 2 shown]
	v_add_f64 v[130:131], v[132:133], v[56:57]
	v_add_f64 v[136:137], v[134:135], v[58:59]
	v_add_f64 v[56:57], v[132:133], -v[56:57]
	v_add_f64 v[58:59], v[134:135], -v[58:59]
	v_add_f64 v[132:133], v[72:73], v[52:53]
	v_add_f64 v[134:135], v[76:77], v[54:55]
	;; [unrolled: 1-line block ×4, first 2 shown]
	v_add_f64 v[138:139], v[72:73], -v[52:53]
	v_add_f64 v[194:195], v[76:77], -v[54:55]
	;; [unrolled: 1-line block ×6, first 2 shown]
	v_add_f64 v[205:206], v[56:57], v[78:79]
	v_add_f64 v[215:216], v[58:59], v[128:129]
	v_add_f64 v[217:218], v[56:57], -v[78:79]
	v_add_f64 v[219:220], v[58:59], -v[128:129]
	v_add_f64 v[130:131], v[130:131], v[132:133]
	v_add_f64 v[132:133], v[136:137], v[134:135]
	v_add_f64 v[78:79], v[78:79], -v[40:41]
	v_add_f64 v[134:135], v[128:129], -v[42:43]
	;; [unrolled: 1-line block ×4, first 2 shown]
	v_add_f64 v[40:41], v[205:206], v[40:41]
	v_add_f64 v[42:43], v[215:216], v[42:43]
	;; [unrolled: 1-line block ×4, first 2 shown]
	v_mul_f64 v[10:11], v[52:53], s[4:5]
	v_mul_f64 v[52:53], v[54:55], s[4:5]
	;; [unrolled: 1-line block ×8, first 2 shown]
	v_fma_f64 v[130:131], v[130:131], s[20:21], v[8:9]
	v_fma_f64 v[132:133], v[132:133], s[20:21], v[128:129]
	;; [unrolled: 1-line block ×4, first 2 shown]
	v_fma_f64 v[54:55], v[138:139], s[6:7], -v[54:55]
	v_fma_f64 v[136:137], v[194:195], s[6:7], -v[136:137]
	;; [unrolled: 1-line block ×4, first 2 shown]
	v_fma_f64 v[138:139], v[56:57], s[24:25], v[205:206]
	v_fma_f64 v[194:195], v[58:59], s[24:25], v[215:216]
	v_fma_f64 v[78:79], v[78:79], s[2:3], -v[205:206]
	v_fma_f64 v[134:135], v[134:135], s[2:3], -v[215:216]
	;; [unrolled: 1-line block ×4, first 2 shown]
	v_add_f64 v[72:73], v[72:73], v[130:131]
	v_add_f64 v[76:77], v[76:77], v[132:133]
	;; [unrolled: 1-line block ×6, first 2 shown]
	v_fma_f64 v[130:131], v[42:43], s[14:15], v[194:195]
	v_fma_f64 v[132:133], v[40:41], s[14:15], v[138:139]
	;; [unrolled: 1-line block ×6, first 2 shown]
	v_add_f64 v[207:208], v[203:204], v[80:81]
	v_add_f64 v[154:155], v[82:83], -v[201:202]
	v_add_f64 v[78:79], v[80:81], -v[203:204]
	v_add_f64 v[134:135], v[201:202], v[82:83]
	v_add_f64 v[82:83], v[58:59], v[10:11]
	v_add_f64 v[194:195], v[52:53], -v[56:57]
	v_add_f64 v[201:202], v[54:55], -v[42:43]
	v_add_f64 v[203:204], v[40:41], v[136:137]
	v_add_f64 v[42:43], v[42:43], v[54:55]
	v_add_f64 v[136:137], v[136:137], -v[40:41]
	v_add_f64 v[205:206], v[56:57], v[52:53]
	v_add_f64 v[40:41], v[48:49], v[84:85]
	;; [unrolled: 1-line block ×3, first 2 shown]
	s_waitcnt vmcnt(2)
	v_add_f64 v[54:55], v[96:97], v[88:89]
	v_add_f64 v[56:57], v[98:99], v[90:91]
	v_add_f64 v[10:11], v[10:11], -v[58:59]
	v_add_f64 v[48:49], v[84:85], -v[48:49]
	;; [unrolled: 1-line block ×5, first 2 shown]
	v_add_f64 v[86:87], v[92:93], v[12:13]
	v_add_f64 v[88:89], v[94:95], v[14:15]
	v_add_f64 v[12:13], v[92:93], -v[12:13]
	v_add_f64 v[14:15], v[94:95], -v[14:15]
	v_add_f64 v[90:91], v[54:55], v[40:41]
	v_add_f64 v[92:93], v[56:57], v[52:53]
	v_add_f64 v[94:95], v[54:55], -v[40:41]
	v_add_f64 v[96:97], v[56:57], -v[52:53]
	v_add_f64 v[40:41], v[40:41], -v[86:87]
	v_add_f64 v[52:53], v[52:53], -v[88:89]
	v_add_f64 v[54:55], v[86:87], -v[54:55]
	v_add_f64 v[56:57], v[88:89], -v[56:57]
	v_add_f64 v[98:99], v[12:13], v[58:59]
	v_add_f64 v[215:216], v[14:15], v[84:85]
	v_add_f64 v[217:218], v[12:13], -v[58:59]
	v_add_f64 v[219:220], v[14:15], -v[84:85]
	v_add_f64 v[86:87], v[86:87], v[90:91]
	v_add_f64 v[88:89], v[88:89], v[92:93]
	v_add_f64 v[58:59], v[58:59], -v[48:49]
	v_add_f64 v[84:85], v[84:85], -v[50:51]
	;; [unrolled: 1-line block ×4, first 2 shown]
	v_add_f64 v[48:49], v[98:99], v[48:49]
	v_add_f64 v[50:51], v[215:216], v[50:51]
	;; [unrolled: 1-line block ×4, first 2 shown]
	v_mul_f64 v[2:3], v[40:41], s[4:5]
	v_mul_f64 v[40:41], v[52:53], s[4:5]
	;; [unrolled: 1-line block ×8, first 2 shown]
	v_fma_f64 v[86:87], v[86:87], s[20:21], v[0:1]
	v_fma_f64 v[88:89], v[88:89], s[20:21], v[98:99]
	;; [unrolled: 1-line block ×4, first 2 shown]
	v_fma_f64 v[52:53], v[94:95], s[6:7], -v[52:53]
	v_fma_f64 v[90:91], v[96:97], s[6:7], -v[90:91]
	;; [unrolled: 1-line block ×4, first 2 shown]
	v_fma_f64 v[94:95], v[12:13], s[24:25], v[92:93]
	v_fma_f64 v[96:97], v[14:15], s[24:25], v[215:216]
	v_fma_f64 v[12:13], v[12:13], s[22:23], -v[217:218]
	v_fma_f64 v[14:15], v[14:15], s[22:23], -v[219:220]
	;; [unrolled: 1-line block ×3, first 2 shown]
	v_add_f64 v[80:81], v[130:131], v[72:73]
	v_add_f64 v[2:3], v[2:3], v[86:87]
	;; [unrolled: 1-line block ×3, first 2 shown]
	v_add_f64 v[138:139], v[76:77], -v[132:133]
	v_fma_f64 v[84:85], v[84:85], s[2:3], -v[215:216]
	v_fma_f64 v[12:13], v[48:49], s[14:15], v[12:13]
	v_fma_f64 v[14:15], v[50:51], s[14:15], v[14:15]
	v_add_f64 v[56:57], v[56:57], v[88:89]
	v_add_f64 v[90:91], v[90:91], v[88:89]
	v_fma_f64 v[88:89], v[48:49], s[14:15], v[94:95]
	v_fma_f64 v[48:49], v[48:49], s[14:15], v[58:59]
	v_add_f64 v[58:59], v[72:73], -v[130:131]
	v_add_f64 v[130:131], v[132:133], v[76:77]
	v_add_f64 v[215:216], v[40:41], -v[12:13]
	v_add_f64 v[76:77], v[14:15], v[2:3]
	;; [unrolled: 2-line block ×3, first 2 shown]
	s_waitcnt vmcnt(0)
	v_add_f64 v[12:13], v[44:45], v[16:17]
	v_add_f64 v[14:15], v[46:47], v[18:19]
	v_add_f64 v[16:17], v[16:17], -v[44:45]
	v_add_f64 v[40:41], v[36:37], v[28:29]
	v_add_f64 v[44:45], v[38:39], v[30:31]
	;; [unrolled: 1-line block ×4, first 2 shown]
	v_fma_f64 v[86:87], v[50:51], s[14:15], v[96:97]
	v_fma_f64 v[50:51], v[50:51], s[14:15], v[84:85]
	v_add_f64 v[18:19], v[18:19], -v[46:47]
	v_add_f64 v[28:29], v[28:29], -v[36:37]
	;; [unrolled: 1-line block ×3, first 2 shown]
	v_add_f64 v[36:37], v[24:25], v[20:21]
	v_add_f64 v[38:39], v[26:27], v[22:23]
	v_add_f64 v[20:21], v[24:25], -v[20:21]
	v_add_f64 v[22:23], v[26:27], -v[22:23]
	v_add_f64 v[24:25], v[40:41], v[12:13]
	v_add_f64 v[26:27], v[44:45], v[14:15]
	v_add_f64 v[84:85], v[52:53], -v[50:51]
	v_add_f64 v[217:218], v[48:49], v[90:91]
	v_add_f64 v[50:51], v[50:51], v[52:53]
	v_add_f64 v[219:220], v[90:91], -v[48:49]
	v_add_f64 v[46:47], v[40:41], -v[12:13]
	v_add_f64 v[48:49], v[44:45], -v[14:15]
	v_add_f64 v[12:13], v[12:13], -v[36:37]
	v_add_f64 v[14:15], v[14:15], -v[38:39]
	v_add_f64 v[40:41], v[36:37], -v[40:41]
	v_add_f64 v[44:45], v[38:39], -v[44:45]
	v_add_f64 v[52:53], v[20:21], v[28:29]
	v_add_f64 v[90:91], v[22:23], v[30:31]
	v_add_f64 v[92:93], v[20:21], -v[28:29]
	v_add_f64 v[94:95], v[22:23], -v[30:31]
	v_add_f64 v[24:25], v[36:37], v[24:25]
	v_add_f64 v[26:27], v[38:39], v[26:27]
	v_add_f64 v[28:29], v[28:29], -v[16:17]
	v_add_f64 v[30:31], v[30:31], -v[18:19]
	;; [unrolled: 1-line block ×4, first 2 shown]
	v_add_f64 v[16:17], v[52:53], v[16:17]
	v_add_f64 v[18:19], v[90:91], v[18:19]
	;; [unrolled: 1-line block ×4, first 2 shown]
	v_mul_f64 v[6:7], v[12:13], s[4:5]
	v_mul_f64 v[12:13], v[14:15], s[4:5]
	;; [unrolled: 1-line block ×8, first 2 shown]
	v_fma_f64 v[24:25], v[24:25], s[20:21], v[4:5]
	v_fma_f64 v[26:27], v[26:27], s[20:21], v[223:224]
	;; [unrolled: 1-line block ×4, first 2 shown]
	v_fma_f64 v[14:15], v[46:47], s[6:7], -v[14:15]
	v_fma_f64 v[36:37], v[48:49], s[6:7], -v[36:37]
	;; [unrolled: 1-line block ×4, first 2 shown]
	v_fma_f64 v[46:47], v[20:21], s[24:25], v[38:39]
	v_fma_f64 v[48:49], v[22:23], s[24:25], v[52:53]
	v_fma_f64 v[30:31], v[30:31], s[2:3], -v[52:53]
	v_fma_f64 v[20:21], v[20:21], s[22:23], -v[90:91]
	;; [unrolled: 1-line block ×4, first 2 shown]
	v_add_f64 v[38:39], v[40:41], v[24:25]
	v_add_f64 v[14:15], v[14:15], v[24:25]
	;; [unrolled: 1-line block ×4, first 2 shown]
	v_fma_f64 v[24:25], v[18:19], s[14:15], v[48:49]
	v_fma_f64 v[20:21], v[16:17], s[14:15], v[20:21]
	;; [unrolled: 1-line block ×4, first 2 shown]
	v_add_f64 v[72:73], v[86:87], v[54:55]
	v_add_f64 v[40:41], v[44:45], v[26:27]
	v_add_f64 v[36:37], v[36:37], v[26:27]
	v_fma_f64 v[26:27], v[16:17], s[14:15], v[46:47]
	v_fma_f64 v[16:17], v[16:17], s[14:15], v[28:29]
	v_add_f64 v[28:29], v[54:55], -v[86:87]
	v_add_f64 v[30:31], v[24:25], v[38:39]
	v_add_f64 v[44:45], v[22:23], v[6:7]
	v_add_f64 v[229:230], v[12:13], -v[20:21]
	v_add_f64 v[46:47], v[14:15], -v[18:19]
	v_add_f64 v[14:15], v[18:19], v[14:15]
	v_add_f64 v[6:7], v[6:7], -v[22:23]
	v_add_f64 v[235:236], v[20:21], v[12:13]
	v_add_f64 v[12:13], v[38:39], -v[24:25]
	v_mad_u32_u24 v243, v253, 56, 0
	buffer_store_dword v253, off, s[36:39], 0 offset:72 ; 4-byte Folded Spill
	s_load_dwordx2 s[26:27], s[26:27], 0x0
	ds_write2_b64 v243, v[148:149], v[150:151] offset1:1
	ds_write2_b64 v243, v[184:185], v[186:187] offset0:2 offset1:3
	ds_write2_b64 v243, v[188:189], v[190:191] offset0:4 offset1:5
	ds_write_b64 v243, v[178:179] offset:48
	v_add_u32_e32 v148, 0xab8, v243
	ds_write2_b64 v148, v[60:61], v[176:177] offset1:1
	v_add_u32_e32 v149, 0xac8, v243
	v_add_u32_e32 v150, 0xad8, v243
	;; [unrolled: 1-line block ×3, first 2 shown]
	ds_write2_b64 v149, v[62:63], v[182:183] offset1:1
	ds_write2_b64 v150, v[180:181], v[192:193] offset1:1
	ds_write_b64 v243, v[70:71] offset:2792
	v_add_u32_e32 v151, 0x1570, v243
	ds_write2_b64 v177, v[66:67], v[172:173] offset1:1
	v_add_u32_e32 v173, 0x1590, v243
	ds_write2_b64 v151, v[64:65], v[68:69] offset1:1
	ds_write2_b64 v173, v[170:171], v[174:175] offset1:1
	ds_write_b64 v243, v[209:210] offset:5536
	v_add_u32_e32 v170, 0x2028, v243
	v_add_u32_e32 v171, 0x2038, v243
	;; [unrolled: 1-line block ×6, first 2 shown]
	ds_write2_b64 v170, v[32:33], v[207:208] offset1:1
	ds_write2_b64 v171, v[211:212], v[213:214] offset1:1
	;; [unrolled: 1-line block ×3, first 2 shown]
	ds_write_b64 v243, v[78:79] offset:8280
	ds_write2_b64 v175, v[8:9], v[80:81] offset1:1
	ds_write2_b64 v178, v[82:83], v[201:202] offset1:1
	;; [unrolled: 1-line block ×3, first 2 shown]
	ds_write_b64 v243, v[58:59] offset:11024
	ds_write_b64 v243, v[0:1] offset:13720
	v_add_u32_e32 v0, 0x35a0, v243
	v_add_u32_e32 v1, 0x35b0, v243
	;; [unrolled: 1-line block ×3, first 2 shown]
	v_lshl_add_u32 v188, v253, 3, 0
	ds_write2_b64 v0, v[72:73], v[76:77] offset1:1
	ds_write2_b64 v1, v[84:85], v[50:51] offset1:1
	;; [unrolled: 1-line block ×3, first 2 shown]
	ds_write_b64 v243, v[4:5] offset:16464
	v_add_u32_e32 v2, 0x4058, v243
	v_add_u32_e32 v3, 0x4068, v243
	;; [unrolled: 1-line block ×4, first 2 shown]
	ds_write2_b64 v2, v[30:31], v[44:45] offset1:1
	ds_write2_b64 v3, v[46:47], v[14:15] offset1:1
	;; [unrolled: 1-line block ×3, first 2 shown]
	s_waitcnt lgkmcnt(0)
	; wave barrier
	s_waitcnt lgkmcnt(0)
	ds_read2_b64 v[183:186], v5 offset0:38 offset1:87
	v_mov_b32_e32 v11, v5
	v_add_u32_e32 v5, 0x1000, v188
	v_add_f64 v[132:133], v[56:57], -v[88:89]
	v_add_f64 v[225:226], v[88:89], v[56:57]
	ds_read2_b64 v[88:91], v5 offset0:174 offset1:223
	v_mov_b32_e32 v20, v5
	v_add_u32_e32 v5, 0x1c00, v188
	v_add_f64 v[227:228], v[40:41], -v[26:27]
	v_add_f64 v[237:238], v[26:27], v[40:41]
	ds_read2_b64 v[24:27], v5 offset0:84 offset1:133
	v_add_u32_e32 v5, 0x3000, v188
	v_add_f64 v[231:232], v[16:17], v[36:37]
	v_add_f64 v[233:234], v[36:37], -v[16:17]
	v_add_u32_e32 v187, 0x2800, v188
	ds_read2_b64 v[16:19], v5 offset0:130 offset1:179
	v_mov_b32_e32 v8, v5
	v_add_u32_e32 v172, 0x4000, v188
	v_add_u32_e32 v5, 0x2000, v188
	ds_read2_b64 v[12:15], v188 offset1:49
	ds_read2_b64 v[92:95], v187 offset0:92 offset1:141
	ds_read2_b64 v[84:87], v172 offset0:10 offset1:59
	;; [unrolled: 1-line block ×4, first 2 shown]
	v_mov_b32_e32 v6, v5
	v_add_u32_e32 v5, 0x3400, v188
	v_mov_b32_e32 v180, v11
	ds_read2_b64 v[72:75], v5 offset0:100 offset1:149
	v_mov_b32_e32 v11, v5
	v_add_u32_e32 v22, 0x1800, v188
	v_add_u32_e32 v5, 0xc00, v188
	;; [unrolled: 1-line block ×3, first 2 shown]
	ds_read2_b64 v[164:167], v188 offset0:98 offset1:147
	ds_read2_b64 v[68:71], v22 offset0:16 offset1:65
	;; [unrolled: 1-line block ×8, first 2 shown]
	v_mov_b32_e32 v176, v5
	s_waitcnt lgkmcnt(0)
	buffer_store_dword v28, off, s[36:39], 0 offset:32 ; 4-byte Folded Spill
	s_nop 0
	buffer_store_dword v29, off, s[36:39], 0 offset:36 ; 4-byte Folded Spill
	buffer_store_dword v30, off, s[36:39], 0 offset:40 ; 4-byte Folded Spill
	;; [unrolled: 1-line block ×3, first 2 shown]
	v_add_u32_e32 v5, 0x2400, v188
	v_mov_b32_e32 v7, v6
	ds_read2_b64 v[44:47], v22 offset0:114 offset1:163
	v_mov_b32_e32 v6, v22
	ds_read2_b64 v[40:43], v8 offset0:32 offset1:81
	ds_read2_b64 v[36:39], v172 offset0:206 offset1:255
	;; [unrolled: 1-line block ×3, first 2 shown]
	v_mov_b32_e32 v8, v20
	ds_read2_b64 v[28:31], v5 offset0:122 offset1:171
	ds_read2_b64 v[20:23], v96 offset0:168 offset1:217
	v_mov_b32_e32 v200, v96
	ds_read_b64 v[96:97], v188 offset:18816
	s_waitcnt lgkmcnt(0)
	; wave barrier
	s_waitcnt lgkmcnt(0)
	ds_write2_b64 v243, v[124:125], v[126:127] offset1:1
	ds_write2_b64 v243, v[140:141], v[142:143] offset0:2 offset1:3
	ds_write2_b64 v243, v[144:145], v[146:147] offset0:4 offset1:5
	ds_write_b64 v243, v[104:105] offset:48
	ds_write2_b64 v148, v[100:101], v[102:103] offset1:1
	ds_write2_b64 v149, v[106:107], v[112:113] offset1:1
	ds_write2_b64 v150, v[114:115], v[116:117] offset1:1
	ds_write_b64 v243, v[118:119] offset:2792
	ds_write2_b64 v151, v[108:109], v[110:111] offset1:1
	ds_write2_b64 v177, v[120:121], v[122:123] offset1:1
	ds_write2_b64 v173, v[239:240], v[241:242] offset1:1
	ds_write_b64 v243, v[156:157] offset:5536
	ds_write2_b64 v170, v[152:153], v[154:155] offset1:1
	ds_write2_b64 v171, v[158:159], v[160:161] offset1:1
	ds_write2_b64 v174, v[162:163], v[168:169] offset1:1
	ds_write_b64 v243, v[134:135] offset:8280
	ds_write2_b64 v175, v[128:129], v[138:139] offset1:1
	ds_write2_b64 v178, v[194:195], v[203:204] offset1:1
	ds_write2_b64 v179, v[136:137], v[205:206] offset1:1
	ds_write_b64 v243, v[130:131] offset:11024
	ds_write_b64 v243, v[98:99] offset:13720
	ds_write2_b64 v0, v[132:133], v[215:216] offset1:1
	ds_write2_b64 v1, v[217:218], v[219:220] offset1:1
	;; [unrolled: 1-line block ×3, first 2 shown]
	ds_write_b64 v243, v[223:224] offset:16464
	ds_write2_b64 v2, v[227:228], v[229:230] offset1:1
	ds_write2_b64 v3, v[231:232], v[233:234] offset1:1
	;; [unrolled: 1-line block ×3, first 2 shown]
	v_mov_b32_e32 v0, 37
	v_mul_lo_u16_sdwa v1, v253, v0 dst_sel:DWORD dst_unused:UNUSED_PAD src0_sel:BYTE_0 src1_sel:DWORD
	v_sub_u16_sdwa v2, v253, v1 dst_sel:DWORD dst_unused:UNUSED_PAD src0_sel:DWORD src1_sel:BYTE_1
	v_lshrrev_b16_e32 v2, 1, v2
	v_and_b32_e32 v2, 0x7f, v2
	v_add_u16_sdwa v1, v2, v1 dst_sel:DWORD dst_unused:UNUSED_PAD src0_sel:DWORD src1_sel:BYTE_1
	v_lshrrev_b16_e32 v1, 2, v1
	s_waitcnt lgkmcnt(0)
	; wave barrier
	s_waitcnt lgkmcnt(0)
	buffer_store_dword v1, off, s[36:39], 0 offset:4 ; 4-byte Folded Spill
	v_mul_lo_u16_e32 v1, 7, v1
	v_sub_u16_e32 v2, v253, v1
	v_mov_b32_e32 v1, 6
	buffer_store_dword v2, off, s[36:39], 0 offset:8 ; 4-byte Folded Spill
	v_mul_u32_u24_sdwa v2, v2, v1 dst_sel:DWORD dst_unused:UNUSED_PAD src0_sel:BYTE_0 src1_sel:DWORD
	v_add_u16_e32 v3, 49, v253
	v_lshlrev_b32_e32 v2, 4, v2
	v_mul_lo_u16_sdwa v4, v3, v0 dst_sel:DWORD dst_unused:UNUSED_PAD src0_sel:BYTE_0 src1_sel:DWORD
	global_load_dwordx4 v[98:101], v2, s[12:13] offset:16
	global_load_dwordx4 v[102:105], v2, s[12:13] offset:48
	global_load_dwordx4 v[106:109], v2, s[12:13] offset:80
	v_sub_u16_sdwa v5, v3, v4 dst_sel:DWORD dst_unused:UNUSED_PAD src0_sel:DWORD src1_sel:BYTE_1
	v_lshrrev_b16_e32 v5, 1, v5
	v_and_b32_e32 v5, 0x7f, v5
	v_add_u16_sdwa v4, v5, v4 dst_sel:DWORD dst_unused:UNUSED_PAD src0_sel:DWORD src1_sel:BYTE_1
	v_lshrrev_b16_e32 v4, 2, v4
	buffer_store_dword v4, off, s[36:39], 0 offset:24 ; 4-byte Folded Spill
	v_mul_lo_u16_e32 v4, 7, v4
	v_sub_u16_e32 v3, v3, v4
	buffer_store_dword v3, off, s[36:39], 0 offset:28 ; 4-byte Folded Spill
	v_mul_u32_u24_sdwa v3, v3, v1 dst_sel:DWORD dst_unused:UNUSED_PAD src0_sel:BYTE_0 src1_sel:DWORD
	v_lshlrev_b32_e32 v3, 4, v3
	global_load_dwordx4 v[112:115], v3, s[12:13]
	global_load_dwordx4 v[116:119], v3, s[12:13] offset:16
	global_load_dwordx4 v[120:123], v3, s[12:13] offset:48
	;; [unrolled: 1-line block ×3, first 2 shown]
	v_add_u16_e32 v169, 0x62, v253
	v_mul_lo_u16_sdwa v4, v169, v0 dst_sel:DWORD dst_unused:UNUSED_PAD src0_sel:BYTE_0 src1_sel:DWORD
	v_sub_u16_sdwa v5, v169, v4 dst_sel:DWORD dst_unused:UNUSED_PAD src0_sel:DWORD src1_sel:BYTE_1
	v_lshrrev_b16_e32 v5, 1, v5
	v_and_b32_e32 v5, 0x7f, v5
	v_add_u16_sdwa v4, v5, v4 dst_sel:DWORD dst_unused:UNUSED_PAD src0_sel:DWORD src1_sel:BYTE_1
	v_lshrrev_b16_e32 v4, 2, v4
	buffer_store_dword v4, off, s[36:39], 0 offset:48 ; 4-byte Folded Spill
	v_mul_lo_u16_e32 v4, 7, v4
	v_sub_u16_e32 v4, v169, v4
	buffer_store_dword v4, off, s[36:39], 0 offset:52 ; 4-byte Folded Spill
	v_mul_u32_u24_sdwa v4, v4, v1 dst_sel:DWORD dst_unused:UNUSED_PAD src0_sel:BYTE_0 src1_sel:DWORD
	v_lshlrev_b32_e32 v4, 4, v4
	global_load_dwordx4 v[128:131], v4, s[12:13]
	global_load_dwordx4 v[132:135], v3, s[12:13] offset:32
	global_load_dwordx4 v[136:139], v3, s[12:13] offset:64
	;; [unrolled: 1-line block ×3, first 2 shown]
	ds_read2_b64 v[144:147], v8 offset0:174 offset1:223
	global_load_dwordx4 v[148:151], v4, s[12:13] offset:48
	global_load_dwordx4 v[152:155], v4, s[12:13] offset:32
	ds_read2_b64 v[156:159], v187 offset0:92 offset1:141
	ds_read2_b64 v[191:194], v172 offset0:10 offset1:59
	global_load_dwordx4 v[201:204], v4, s[12:13] offset:80
	global_load_dwordx4 v[205:208], v4, s[12:13] offset:64
	v_add_u16_e32 v175, 0x93, v253
	v_mul_lo_u16_sdwa v3, v175, v0 dst_sel:DWORD dst_unused:UNUSED_PAD src0_sel:BYTE_0 src1_sel:DWORD
	v_sub_u16_sdwa v4, v175, v3 dst_sel:DWORD dst_unused:UNUSED_PAD src0_sel:DWORD src1_sel:BYTE_1
	v_lshrrev_b16_e32 v4, 1, v4
	v_and_b32_e32 v4, 0x7f, v4
	v_add_u16_sdwa v3, v4, v3 dst_sel:DWORD dst_unused:UNUSED_PAD src0_sel:DWORD src1_sel:BYTE_1
	v_lshrrev_b16_e32 v3, 2, v3
	buffer_store_dword v3, off, s[36:39], 0 offset:56 ; 4-byte Folded Spill
	v_mul_lo_u16_e32 v3, 7, v3
	v_sub_u16_e32 v3, v175, v3
	buffer_store_dword v3, off, s[36:39], 0 offset:60 ; 4-byte Folded Spill
	v_mul_u32_u24_sdwa v3, v3, v1 dst_sel:DWORD dst_unused:UNUSED_PAD src0_sel:BYTE_0 src1_sel:DWORD
	v_lshlrev_b32_e32 v3, 4, v3
	global_load_dwordx4 v[209:212], v3, s[12:13] offset:16
	ds_read2_b64 v[213:216], v180 offset0:136 offset1:185
	global_load_dwordx4 v[217:220], v2, s[12:13] offset:32
	global_load_dwordx4 v[221:224], v2, s[12:13]
	global_load_dwordx4 v[225:228], v2, s[12:13] offset:64
	ds_read2_b64 v[229:232], v7 offset0:54 offset1:103
	ds_read2_b64 v[233:236], v11 offset0:100 offset1:149
	global_load_dwordx4 v[237:240], v3, s[12:13]
	global_load_dwordx4 v[241:244], v3, s[12:13] offset:48
	global_load_dwordx4 v[245:248], v3, s[12:13] offset:32
	v_add_u16_e32 v168, 0xc4, v253
	v_mul_lo_u16_sdwa v0, v168, v0 dst_sel:DWORD dst_unused:UNUSED_PAD src0_sel:BYTE_0 src1_sel:DWORD
	v_sub_u16_sdwa v2, v168, v0 dst_sel:DWORD dst_unused:UNUSED_PAD src0_sel:DWORD src1_sel:BYTE_1
	v_lshrrev_b16_e32 v2, 1, v2
	ds_read2_b64 v[249:252], v6 offset0:16 offset1:65
	v_and_b32_e32 v2, 0x7f, v2
	v_add_u16_sdwa v0, v2, v0 dst_sel:DWORD dst_unused:UNUSED_PAD src0_sel:DWORD src1_sel:BYTE_1
	v_lshrrev_b16_e32 v0, 2, v0
	v_mov_b32_e32 v4, v180
	v_add_u32_e32 v5, 0xf5, v253
	s_movk_i32 s28, 0x2493
	v_mov_b32_e32 v9, v7
	v_mov_b32_e32 v7, v6
	s_movk_i32 s29, 0x4000
	s_movk_i32 s30, 0x2000
	s_waitcnt vmcnt(27) lgkmcnt(6)
	v_mul_f64 v[110:111], v[144:145], v[100:101]
	v_mul_f64 v[100:101], v[88:89], v[100:101]
	s_waitcnt vmcnt(26) lgkmcnt(5)
	v_mul_f64 v[160:161], v[156:157], v[104:105]
	s_waitcnt vmcnt(25) lgkmcnt(4)
	v_mul_f64 v[162:163], v[191:192], v[108:109]
	v_mul_f64 v[177:178], v[84:85], v[108:109]
	;; [unrolled: 1-line block ×3, first 2 shown]
	v_fma_f64 v[108:109], v[88:89], v[98:99], v[110:111]
	v_fma_f64 v[110:111], v[144:145], v[98:99], -v[100:101]
	v_fma_f64 v[88:89], v[92:93], v[102:103], v[160:161]
	v_fma_f64 v[160:161], v[84:85], v[106:107], v[162:163]
	v_fma_f64 v[162:163], v[191:192], v[106:107], -v[177:178]
	s_waitcnt vmcnt(22) lgkmcnt(3)
	v_mul_f64 v[84:85], v[213:214], v[114:115]
	v_mul_f64 v[98:99], v[80:81], v[114:115]
	s_waitcnt vmcnt(21)
	v_mul_f64 v[100:101], v[146:147], v[118:119]
	v_mul_f64 v[106:107], v[90:91], v[118:119]
	s_waitcnt vmcnt(20)
	v_mul_f64 v[118:119], v[94:95], v[122:123]
	v_fma_f64 v[92:93], v[156:157], v[102:103], -v[104:105]
	v_mul_f64 v[114:115], v[158:159], v[122:123]
	v_fma_f64 v[102:103], v[80:81], v[112:113], v[84:85]
	v_fma_f64 v[104:105], v[213:214], v[112:113], -v[98:99]
	v_fma_f64 v[98:99], v[90:91], v[116:117], v[100:101]
	v_fma_f64 v[100:101], v[146:147], v[116:117], -v[106:107]
	v_fma_f64 v[84:85], v[158:159], v[120:121], -v[118:119]
	global_load_dwordx4 v[144:147], v3, s[12:13] offset:80
	global_load_dwordx4 v[156:159], v3, s[12:13] offset:64
	s_waitcnt vmcnt(21)
	v_mul_f64 v[90:91], v[193:194], v[126:127]
	buffer_store_dword v0, off, s[36:39], 0 offset:64 ; 4-byte Folded Spill
	v_mul_lo_u16_e32 v0, 7, v0
	v_sub_u16_e32 v0, v168, v0
	buffer_store_dword v0, off, s[36:39], 0 offset:68 ; 4-byte Folded Spill
	v_mul_u32_u24_sdwa v0, v0, v1 dst_sel:DWORD dst_unused:UNUSED_PAD src0_sel:BYTE_0 src1_sel:DWORD
	v_lshlrev_b32_e32 v195, 4, v0
	global_load_dwordx4 v[177:180], v195, s[12:13] offset:16
	global_load_dwordx4 v[189:192], v195, s[12:13]
	v_fma_f64 v[80:81], v[94:95], v[120:121], v[114:115]
	v_mul_f64 v[94:95], v[86:87], v[126:127]
	s_waitcnt vmcnt(22)
	v_mul_f64 v[106:107], v[215:216], v[130:131]
	v_fma_f64 v[254:255], v[86:87], v[124:125], v[90:91]
	v_mul_f64 v[86:87], v[82:83], v[130:131]
	s_waitcnt vmcnt(21) lgkmcnt(2)
	v_mul_f64 v[90:91], v[229:230], v[134:135]
	s_waitcnt vmcnt(20) lgkmcnt(1)
	v_mul_f64 v[112:113], v[233:234], v[138:139]
	s_waitcnt vmcnt(17)
	v_mul_f64 v[114:115], v[78:79], v[154:155]
	ds_read2_b64 v[120:123], v187 offset0:190 offset1:239
	v_fma_f64 v[170:171], v[193:194], v[124:125], -v[94:95]
	v_mul_f64 v[94:95], v[76:77], v[134:135]
	v_fma_f64 v[82:83], v[82:83], v[128:129], v[106:107]
	v_fma_f64 v[106:107], v[215:216], v[128:129], -v[86:87]
	v_mul_f64 v[86:87], v[231:232], v[154:155]
	ds_read2_b64 v[124:127], v172 offset0:108 offset1:157
	ds_read2_b64 v[128:131], v176 offset0:106 offset1:155
	v_fma_f64 v[90:91], v[76:77], v[132:133], v[90:91]
	v_fma_f64 v[173:174], v[72:73], v[136:137], v[112:113]
	v_fma_f64 v[94:95], v[229:230], v[132:133], -v[94:95]
	v_mul_f64 v[112:113], v[72:73], v[138:139]
	s_waitcnt lgkmcnt(3)
	v_mul_f64 v[116:117], v[249:250], v[142:143]
	v_fma_f64 v[72:73], v[78:79], v[152:153], v[86:87]
	v_fma_f64 v[76:77], v[231:232], v[152:153], -v[114:115]
	global_load_dwordx4 v[229:232], v195, s[12:13] offset:48
	global_load_dwordx4 v[152:155], v195, s[12:13] offset:32
	s_waitcnt vmcnt(17)
	v_mul_f64 v[132:133], v[74:75], v[207:208]
	v_mul_f64 v[118:119], v[68:69], v[142:143]
	;; [unrolled: 1-line block ×3, first 2 shown]
	v_fma_f64 v[181:182], v[233:234], v[136:137], -v[112:113]
	v_fma_f64 v[78:79], v[68:69], v[140:141], v[116:117]
	s_waitcnt vmcnt(14)
	v_mul_f64 v[68:69], v[251:252], v[211:212]
	v_mul_u32_u24_sdwa v0, v5, s28 dst_sel:DWORD dst_unused:UNUSED_PAD src0_sel:WORD_0 src1_sel:DWORD
	v_sub_u16_sdwa v1, v5, v0 dst_sel:DWORD dst_unused:UNUSED_PAD src0_sel:DWORD src1_sel:WORD_1
	v_fma_f64 v[116:117], v[235:236], v[205:206], -v[132:133]
	global_load_dwordx4 v[233:236], v195, s[12:13] offset:64
	v_fma_f64 v[112:113], v[249:250], v[140:141], -v[118:119]
	s_waitcnt lgkmcnt(2)
	v_mul_f64 v[118:119], v[120:121], v[150:151]
	v_lshrrev_b16_e32 v1, 1, v1
	ds_read2_b64 v[213:216], v9 offset0:152 offset1:201
	v_add_u16_sdwa v0, v1, v0 dst_sel:DWORD dst_unused:UNUSED_PAD src0_sel:DWORD src1_sel:WORD_1
	v_fma_f64 v[114:115], v[74:75], v[205:206], v[86:87]
	v_mul_f64 v[74:75], v[64:65], v[150:151]
	v_fma_f64 v[68:69], v[70:71], v[209:210], v[68:69]
	v_mul_f64 v[70:71], v[70:71], v[211:212]
	v_lshrrev_b16_e32 v211, 2, v0
	v_mul_lo_u16_e32 v0, 7, v211
	v_sub_u16_e32 v193, v5, v0
	v_mul_u32_u24_e32 v0, 6, v193
	buffer_store_dword v5, off, s[36:39], 0 ; 4-byte Folded Spill
	v_lshlrev_b32_e32 v249, 4, v0
	v_fma_f64 v[5:6], v[64:65], v[148:149], v[118:119]
	s_waitcnt vmcnt(12) lgkmcnt(1)
	v_mul_f64 v[64:65], v[128:129], v[239:240]
	s_waitcnt vmcnt(10) lgkmcnt(0)
	v_mul_f64 v[136:137], v[213:214], v[247:248]
	v_mul_f64 v[86:87], v[124:125], v[203:204]
	global_load_dwordx4 v[205:208], v249, s[12:13] offset:16
	v_mul_f64 v[132:133], v[60:61], v[203:204]
	v_fma_f64 v[10:11], v[120:121], v[148:149], -v[74:75]
	ds_read2_b64 v[148:151], v200 offset0:70 offset1:119
	v_mul_f64 v[74:75], v[52:53], v[247:248]
	v_fma_f64 v[118:119], v[56:57], v[237:238], v[64:65]
	v_fma_f64 v[64:65], v[52:53], v[245:246], v[136:137]
	v_mul_f64 v[52:53], v[122:123], v[243:244]
	v_mul_f64 v[134:135], v[56:57], v[239:240]
	v_fma_f64 v[86:87], v[60:61], v[201:202], v[86:87]
	v_mul_f64 v[56:57], v[66:67], v[243:244]
	v_fma_f64 v[1:2], v[124:125], v[201:202], -v[132:133]
	global_load_dwordx4 v[201:204], v249, s[12:13] offset:48
	v_mov_b32_e32 v0, v200
	v_add_u32_e32 v200, 0x126, v253
	v_fma_f64 v[66:67], v[66:67], v[241:242], v[52:53]
	v_fma_f64 v[120:121], v[128:129], v[237:238], -v[134:135]
	global_load_dwordx4 v[237:240], v195, s[12:13] offset:80
	s_waitcnt vmcnt(11) lgkmcnt(0)
	v_mul_f64 v[60:61], v[148:149], v[158:159]
	v_mul_f64 v[52:53], v[48:49], v[158:159]
	v_fma_f64 v[122:123], v[122:123], v[241:242], -v[56:57]
	v_mul_f64 v[56:57], v[126:127], v[146:147]
	v_add_u32_e32 v3, 0x3000, v188
	v_fma_f64 v[74:75], v[213:214], v[245:246], -v[74:75]
	v_fma_f64 v[70:71], v[251:252], v[209:210], -v[70:71]
	s_waitcnt vmcnt(7)
	v_mul_f64 v[132:133], v[58:59], v[191:192]
	v_fma_f64 v[128:129], v[48:49], v[156:157], v[60:61]
	v_mul_f64 v[48:49], v[62:63], v[146:147]
	v_mul_f64 v[124:125], v[130:131], v[191:192]
	v_fma_f64 v[134:135], v[148:149], v[156:157], -v[52:53]
	v_fma_f64 v[136:137], v[62:63], v[144:145], v[56:57]
	ds_read2_b64 v[60:63], v7 offset0:114 offset1:163
	v_fma_f64 v[52:53], v[130:131], v[189:190], -v[132:133]
	v_mul_u32_u24_sdwa v130, v200, s28 dst_sel:DWORD dst_unused:UNUSED_PAD src0_sel:WORD_0 src1_sel:DWORD
	v_fma_f64 v[138:139], v[126:127], v[144:145], -v[48:49]
	v_fma_f64 v[48:49], v[58:59], v[189:190], v[124:125]
	global_load_dwordx4 v[56:59], v249, s[12:13] offset:80
	v_sub_u16_sdwa v131, v200, v130 dst_sel:DWORD dst_unused:UNUSED_PAD src0_sel:DWORD src1_sel:WORD_1
	v_lshrrev_b16_e32 v131, 1, v131
	v_add_u16_sdwa v130, v131, v130 dst_sel:DWORD dst_unused:UNUSED_PAD src0_sel:DWORD src1_sel:WORD_1
	v_lshrrev_b16_e32 v194, 2, v130
	v_mul_lo_u16_e32 v130, 7, v194
	v_sub_u16_e32 v195, v200, v130
	v_mul_u32_u24_e32 v130, 6, v195
	v_lshlrev_b32_e32 v176, 4, v130
	s_waitcnt lgkmcnt(0)
	v_mul_f64 v[124:125], v[60:61], v[179:180]
	v_mul_f64 v[126:127], v[44:45], v[179:180]
	global_load_dwordx4 v[189:192], v249, s[12:13]
	global_load_dwordx4 v[241:244], v176, s[12:13]
	s_waitcnt vmcnt(8)
	v_mul_f64 v[130:131], v[215:216], v[154:155]
	s_movk_i32 s28, 0x4f
	v_fma_f64 v[142:143], v[44:45], v[177:178], v[124:125]
	v_fma_f64 v[144:145], v[60:61], v[177:178], -v[126:127]
	global_load_dwordx4 v[177:180], v176, s[12:13] offset:16
	v_mul_f64 v[44:45], v[54:55], v[154:155]
	v_fma_f64 v[140:141], v[54:55], v[152:153], v[130:131]
	s_waitcnt vmcnt(8)
	v_mul_f64 v[54:55], v[50:51], v[235:236]
	ds_read2_b64 v[124:127], v3 offset0:32 offset1:81
	v_fma_f64 v[146:147], v[215:216], v[152:153], -v[44:45]
	v_mul_f64 v[44:45], v[150:151], v[235:236]
	s_waitcnt lgkmcnt(0)
	v_mul_f64 v[60:61], v[124:125], v[231:232]
	v_fma_f64 v[154:155], v[150:151], v[233:234], -v[54:55]
	global_load_dwordx4 v[212:215], v249, s[12:13] offset:32
	v_fma_f64 v[152:153], v[50:51], v[233:234], v[44:45]
	v_mul_f64 v[44:45], v[40:41], v[231:232]
	global_load_dwordx4 v[231:234], v176, s[12:13] offset:32
	v_fma_f64 v[156:157], v[40:41], v[229:230], v[60:61]
	s_waitcnt vmcnt(8)
	v_mul_f64 v[50:51], v[62:63], v[207:208]
	v_fma_f64 v[158:159], v[124:125], v[229:230], -v[44:45]
	v_mul_f64 v[44:45], v[46:47], v[207:208]
	global_load_dwordx4 v[207:210], v176, s[12:13] offset:48
	global_load_dwordx4 v[245:248], v249, s[12:13] offset:64
	ds_read2_b64 v[130:133], v172 offset0:206 offset1:255
	global_load_dwordx4 v[249:252], v176, s[12:13] offset:64
	v_fma_f64 v[40:41], v[46:47], v[205:206], v[50:51]
	ds_read2_b64 v[148:151], v8 offset0:76 offset1:125
	s_waitcnt vmcnt(10)
	v_mul_f64 v[46:47], v[126:127], v[203:204]
	v_mul_f64 v[50:51], v[42:43], v[203:204]
	v_fma_f64 v[44:45], v[62:63], v[205:206], -v[44:45]
	v_fma_f64 v[60:61], v[42:43], v[201:202], v[46:47]
	s_waitcnt vmcnt(9) lgkmcnt(1)
	v_mul_f64 v[42:43], v[130:131], v[239:240]
	v_fma_f64 v[62:63], v[126:127], v[201:202], -v[50:51]
	v_mul_f64 v[46:47], v[36:37], v[239:240]
	v_add_u32_e32 v239, 0x1c00, v188
	v_add_u32_e32 v240, 0x2400, v188
	ds_read2_b64 v[201:204], v0 offset0:168 offset1:217
	v_fma_f64 v[229:230], v[36:37], v[237:238], v[42:43]
	v_fma_f64 v[235:236], v[130:131], v[237:238], -v[46:47]
	v_mov_b32_e32 v238, v184
	v_mov_b32_e32 v237, v183
	s_waitcnt vmcnt(8)
	v_mul_f64 v[50:51], v[132:133], v[58:59]
	v_mul_f64 v[36:37], v[38:39], v[58:59]
	v_fma_f64 v[124:125], v[38:39], v[56:57], v[50:51]
	v_fma_f64 v[126:127], v[132:133], v[56:57], -v[36:37]
	ds_read2_b64 v[54:57], v239 offset0:84 offset1:133
	s_waitcnt vmcnt(7) lgkmcnt(2)
	v_mul_f64 v[38:39], v[148:149], v[191:192]
	v_mul_f64 v[42:43], v[32:33], v[191:192]
	s_waitcnt vmcnt(6)
	v_mul_f64 v[46:47], v[34:35], v[243:244]
	v_mul_f64 v[50:51], v[26:27], v[219:220]
	;; [unrolled: 1-line block ×3, first 2 shown]
	v_mov_b32_e32 v243, v4
	v_fma_f64 v[130:131], v[32:33], v[189:190], v[38:39]
	v_fma_f64 v[132:133], v[148:149], v[189:190], -v[42:43]
	s_waitcnt lgkmcnt(0)
	v_mul_f64 v[42:43], v[56:57], v[219:220]
	v_fma_f64 v[38:39], v[150:151], v[241:242], -v[46:47]
	s_waitcnt vmcnt(5)
	v_mul_f64 v[46:47], v[54:55], v[179:180]
	v_mul_f64 v[148:149], v[24:25], v[179:180]
	v_fma_f64 v[36:37], v[34:35], v[241:242], v[36:37]
	ds_read2_b64 v[32:35], v4 offset0:38 offset1:87
	v_fma_f64 v[50:51], v[56:57], v[217:218], -v[50:51]
	ds_read2_b64 v[56:59], v3 offset0:130 offset1:179
	v_fma_f64 v[219:220], v[26:27], v[217:218], v[42:43]
	v_mul_f64 v[42:43], v[185:186], v[223:224]
	v_fma_f64 v[24:25], v[24:25], v[177:178], v[46:47]
	v_fma_f64 v[26:27], v[54:55], v[177:178], -v[148:149]
	global_load_dwordx4 v[177:180], v176, s[12:13] offset:80
	ds_read2_b64 v[189:192], v240 offset0:122 offset1:171
	s_waitcnt lgkmcnt(2)
	v_mul_f64 v[150:151], v[34:35], v[223:224]
	s_waitcnt lgkmcnt(1)
	v_mul_f64 v[46:47], v[58:59], v[227:228]
	v_mul_f64 v[54:55], v[18:19], v[227:228]
	v_fma_f64 v[216:217], v[34:35], v[221:222], -v[42:43]
	s_waitcnt vmcnt(5) lgkmcnt(0)
	v_mul_f64 v[148:149], v[189:190], v[214:215]
	v_mul_f64 v[34:35], v[28:29], v[214:215]
	s_waitcnt vmcnt(4)
	v_mul_f64 v[42:43], v[191:192], v[233:234]
	v_mov_b32_e32 v176, v0
	v_fma_f64 v[8:9], v[185:186], v[221:222], v[150:151]
	v_fma_f64 v[46:47], v[18:19], v[225:226], v[46:47]
	v_fma_f64 v[54:55], v[58:59], v[225:226], -v[54:55]
	v_mul_f64 v[18:19], v[30:31], v[233:234]
	v_fma_f64 v[148:149], v[28:29], v[212:213], v[148:149]
	v_fma_f64 v[150:151], v[189:190], v[212:213], -v[34:35]
	v_fma_f64 v[28:29], v[30:31], v[231:232], v[42:43]
	s_waitcnt vmcnt(3)
	v_mul_f64 v[42:43], v[16:17], v[209:210]
	s_waitcnt vmcnt(2)
	v_mul_f64 v[58:59], v[201:202], v[247:248]
	;; [unrolled: 2-line block ×3, first 2 shown]
	v_mul_f64 v[214:215], v[22:23], v[251:252]
	v_mul_f64 v[34:35], v[56:57], v[209:210]
	;; [unrolled: 1-line block ×3, first 2 shown]
	v_fma_f64 v[30:31], v[191:192], v[231:232], -v[18:19]
	ds_read2_b64 v[189:192], v188 offset1:49
	v_fma_f64 v[42:43], v[56:57], v[207:208], -v[42:43]
	v_fma_f64 v[221:222], v[20:21], v[245:246], v[58:59]
	v_fma_f64 v[20:21], v[22:23], v[249:250], v[212:213]
	v_fma_f64 v[22:23], v[203:204], v[249:250], -v[214:215]
	v_add_f64 v[56:57], v[8:9], v[160:161]
	v_add_f64 v[58:59], v[216:217], v[162:163]
	v_add_f64 v[8:9], v[8:9], -v[160:161]
	v_add_f64 v[160:161], v[216:217], -v[162:163]
	v_add_f64 v[162:163], v[108:109], v[46:47]
	v_add_f64 v[203:204], v[110:111], v[54:55]
	v_add_f64 v[46:47], v[108:109], -v[46:47]
	v_add_f64 v[108:109], v[219:220], v[88:89]
	v_fma_f64 v[201:202], v[201:202], v[245:246], -v[209:210]
	v_add_f64 v[54:55], v[110:111], -v[54:55]
	v_add_f64 v[110:111], v[50:51], v[92:93]
	v_add_f64 v[88:89], v[88:89], -v[219:220]
	v_add_f64 v[50:51], v[92:93], -v[50:51]
	v_add_f64 v[92:93], v[162:163], v[56:57]
	v_add_f64 v[209:210], v[203:204], v[58:59]
	v_add_f64 v[212:213], v[162:163], -v[56:57]
	v_add_f64 v[56:57], v[56:57], -v[108:109]
	;; [unrolled: 1-line block ×6, first 2 shown]
	v_add_f64 v[216:217], v[88:89], v[46:47]
	v_add_f64 v[223:224], v[88:89], -v[46:47]
	v_add_f64 v[92:93], v[108:109], v[92:93]
	v_add_f64 v[108:109], v[110:111], v[209:210]
	v_add_f64 v[46:47], v[46:47], -v[8:9]
	v_mul_f64 v[56:57], v[56:57], s[4:5]
	v_mul_f64 v[209:210], v[162:163], s[16:17]
	v_add_f64 v[218:219], v[50:51], v[54:55]
	v_add_f64 v[225:226], v[50:51], -v[54:55]
	v_add_f64 v[88:89], v[8:9], -v[88:89]
	;; [unrolled: 1-line block ×3, first 2 shown]
	v_add_f64 v[110:111], v[216:217], v[8:9]
	v_add_f64 v[8:9], v[12:13], v[92:93]
	s_waitcnt lgkmcnt(0)
	v_add_f64 v[189:190], v[189:190], v[108:109]
	v_mul_f64 v[12:13], v[58:59], s[4:5]
	v_mul_f64 v[58:59], v[203:204], s[16:17]
	;; [unrolled: 1-line block ×3, first 2 shown]
	v_fma_f64 v[162:163], v[162:163], s[16:17], v[56:57]
	v_fma_f64 v[209:210], v[212:213], s[6:7], -v[209:210]
	v_fma_f64 v[56:57], v[212:213], s[8:9], -v[56:57]
	v_mul_f64 v[212:213], v[46:47], s[2:3]
	v_add_f64 v[50:51], v[160:161], -v[50:51]
	v_add_f64 v[160:161], v[218:219], v[160:161]
	v_mul_f64 v[218:219], v[225:226], s[18:19]
	v_fma_f64 v[203:204], v[203:204], s[16:17], v[12:13]
	v_fma_f64 v[58:59], v[214:215], s[6:7], -v[58:59]
	v_fma_f64 v[12:13], v[214:215], s[8:9], -v[12:13]
	v_mul_f64 v[214:215], v[54:55], s[2:3]
	v_fma_f64 v[92:93], v[92:93], s[20:21], v[8:9]
	v_fma_f64 v[46:47], v[46:47], s[2:3], -v[216:217]
	v_fma_f64 v[216:217], v[88:89], s[24:25], v[216:217]
	v_fma_f64 v[88:89], v[88:89], s[22:23], -v[212:213]
	v_fma_f64 v[108:109], v[108:109], s[20:21], v[189:190]
	v_fma_f64 v[34:35], v[16:17], v[207:208], v[34:35]
	ds_read2_b64 v[205:208], v188 offset0:98 offset1:147
	ds_read2_b64 v[16:19], v188 offset0:196 offset1:245
	ds_read_b64 v[212:213], v188 offset:18816
	v_fma_f64 v[54:55], v[54:55], s[2:3], -v[218:219]
	v_fma_f64 v[218:219], v[50:51], s[24:25], v[218:219]
	v_fma_f64 v[50:51], v[50:51], s[22:23], -v[214:215]
	v_add_f64 v[223:224], v[162:163], v[92:93]
	s_waitcnt vmcnt(0) lgkmcnt(0)
	v_mul_f64 v[214:215], v[212:213], v[179:180]
	v_add_f64 v[209:210], v[209:210], v[92:93]
	v_add_f64 v[56:57], v[56:57], v[92:93]
	v_mul_f64 v[92:93], v[96:97], v[179:180]
	v_add_f64 v[179:180], v[203:204], v[108:109]
	v_add_f64 v[58:59], v[58:59], v[108:109]
	;; [unrolled: 1-line block ×3, first 2 shown]
	v_fma_f64 v[216:217], v[110:111], s[14:15], v[216:217]
	v_fma_f64 v[225:226], v[110:111], s[14:15], v[88:89]
	;; [unrolled: 1-line block ×7, first 2 shown]
	v_fma_f64 v[212:213], v[212:213], v[177:178], -v[92:93]
	v_add_f64 v[160:161], v[98:99], v[173:174]
	v_add_f64 v[162:163], v[108:109], -v[225:226]
	v_add_f64 v[92:93], v[110:111], v[58:59]
	v_add_f64 v[177:178], v[58:59], -v[110:111]
	v_add_f64 v[96:97], v[225:226], v[108:109]
	v_add_f64 v[108:109], v[102:103], v[254:255]
	;; [unrolled: 1-line block ×3, first 2 shown]
	v_add_f64 v[104:105], v[104:105], -v[170:171]
	v_add_f64 v[170:171], v[100:101], v[181:182]
	v_add_f64 v[98:99], v[98:99], -v[173:174]
	v_add_f64 v[100:101], v[100:101], -v[181:182]
	v_add_f64 v[173:174], v[90:91], v[80:81]
	v_add_f64 v[181:182], v[94:95], v[84:85]
	v_add_f64 v[80:81], v[80:81], -v[90:91]
	v_add_f64 v[84:85], v[84:85], -v[94:95]
	v_add_f64 v[90:91], v[160:161], v[108:109]
	v_add_f64 v[94:95], v[170:171], v[110:111]
	;; [unrolled: 1-line block ×4, first 2 shown]
	v_add_f64 v[50:51], v[209:210], -v[54:55]
	v_add_f64 v[54:55], v[54:55], v[209:210]
	v_add_f64 v[56:57], v[56:57], -v[218:219]
	v_add_f64 v[58:59], v[223:224], -v[203:204]
	;; [unrolled: 1-line block ×9, first 2 shown]
	v_add_f64 v[218:219], v[80:81], v[98:99]
	v_add_f64 v[90:91], v[173:174], v[90:91]
	v_add_f64 v[173:174], v[80:81], -v[98:99]
	v_add_f64 v[94:95], v[181:182], v[94:95]
	v_add_f64 v[181:182], v[84:85], -v[100:101]
	;; [unrolled: 2-line block ×3, first 2 shown]
	v_add_f64 v[225:226], v[98:99], -v[102:103]
	v_add_f64 v[100:101], v[100:101], -v[104:105]
	v_add_f64 v[102:103], v[218:219], v[102:103]
	v_add_f64 v[14:15], v[14:15], v[90:91]
	;; [unrolled: 1-line block ×3, first 2 shown]
	v_mul_f64 v[108:109], v[108:109], s[4:5]
	v_mul_f64 v[191:192], v[160:161], s[16:17]
	;; [unrolled: 1-line block ×5, first 2 shown]
	v_add_f64 v[84:85], v[104:105], -v[84:85]
	v_add_f64 v[104:105], v[223:224], v[104:105]
	v_mul_f64 v[110:111], v[110:111], s[4:5]
	v_mul_f64 v[227:228], v[100:101], s[2:3]
	v_fma_f64 v[90:91], v[90:91], s[20:21], v[14:15]
	v_fma_f64 v[94:95], v[94:95], s[20:21], v[98:99]
	;; [unrolled: 1-line block ×3, first 2 shown]
	v_fma_f64 v[191:192], v[203:204], s[6:7], -v[191:192]
	v_fma_f64 v[218:219], v[209:210], s[6:7], -v[218:219]
	v_fma_f64 v[108:109], v[203:204], s[8:9], -v[108:109]
	v_fma_f64 v[203:204], v[80:81], s[24:25], v[173:174]
	v_fma_f64 v[173:174], v[225:226], s[2:3], -v[173:174]
	v_fma_f64 v[100:101], v[100:101], s[2:3], -v[181:182]
	v_mul_f64 v[223:224], v[225:226], s[2:3]
	v_fma_f64 v[170:171], v[170:171], s[16:17], v[110:111]
	v_fma_f64 v[110:111], v[209:210], s[8:9], -v[110:111]
	v_fma_f64 v[209:210], v[84:85], s[24:25], v[181:182]
	v_fma_f64 v[84:85], v[84:85], s[22:23], -v[227:228]
	v_add_f64 v[181:182], v[160:161], v[90:91]
	v_add_f64 v[191:192], v[191:192], v[90:91]
	;; [unrolled: 1-line block ×4, first 2 shown]
	v_fma_f64 v[108:109], v[104:105], s[14:15], v[100:101]
	v_fma_f64 v[173:174], v[102:103], s[14:15], v[173:174]
	v_add_f64 v[88:89], v[179:180], -v[216:217]
	v_fma_f64 v[80:81], v[80:81], s[22:23], -v[223:224]
	v_fma_f64 v[209:210], v[104:105], s[14:15], v[209:210]
	v_fma_f64 v[223:224], v[104:105], s[14:15], v[84:85]
	v_add_f64 v[100:101], v[216:217], v[179:180]
	v_mov_b32_e32 v241, v3
	v_add_f64 v[160:161], v[191:192], -v[108:109]
	v_add_f64 v[104:105], v[173:174], v[218:219]
	v_add_f64 v[179:180], v[108:109], v[191:192]
	v_add_f64 v[108:109], v[218:219], -v[173:174]
	v_add_f64 v[173:174], v[82:83], v[86:87]
	v_add_f64 v[191:192], v[106:107], v[1:2]
	v_add_f64 v[82:83], v[82:83], -v[86:87]
	v_add_f64 v[0:1], v[106:107], -v[1:2]
	v_add_f64 v[86:87], v[78:79], v[114:115]
	v_add_f64 v[106:107], v[112:113], v[116:117]
	v_add_f64 v[78:79], v[78:79], -v[114:115]
	v_add_f64 v[112:113], v[112:113], -v[116:117]
	v_add_f64 v[114:115], v[72:73], v[5:6]
	v_add_f64 v[116:117], v[76:77], v[10:11]
	v_add_f64 v[110:111], v[110:111], v[94:95]
	v_fma_f64 v[225:226], v[102:103], s[14:15], v[80:81]
	v_add_f64 v[94:95], v[170:171], v[94:95]
	v_fma_f64 v[170:171], v[102:103], s[14:15], v[203:204]
	v_add_f64 v[4:5], v[5:6], -v[72:73]
	v_add_f64 v[2:3], v[10:11], -v[76:77]
	v_add_f64 v[72:73], v[86:87], v[173:174]
	v_add_f64 v[76:77], v[106:107], v[191:192]
	v_add_f64 v[203:204], v[86:87], -v[173:174]
	v_add_f64 v[216:217], v[106:107], -v[191:192]
	;; [unrolled: 1-line block ×6, first 2 shown]
	v_add_f64 v[84:85], v[223:224], v[90:91]
	v_add_f64 v[102:103], v[110:111], -v[225:226]
	v_add_f64 v[90:91], v[90:91], -v[223:224]
	v_add_f64 v[110:111], v[225:226], v[110:111]
	v_add_f64 v[106:107], v[4:5], v[78:79]
	;; [unrolled: 1-line block ×3, first 2 shown]
	v_add_f64 v[225:226], v[4:5], -v[78:79]
	v_add_f64 v[227:228], v[2:3], -v[112:113]
	v_add_f64 v[72:73], v[114:115], v[72:73]
	v_add_f64 v[76:77], v[116:117], v[76:77]
	v_add_f64 v[78:79], v[78:79], -v[82:83]
	v_add_f64 v[112:113], v[112:113], -v[0:1]
	v_mul_f64 v[114:115], v[173:174], s[4:5]
	v_mul_f64 v[116:117], v[86:87], s[16:17]
	;; [unrolled: 1-line block ×4, first 2 shown]
	v_add_f64 v[4:5], v[82:83], -v[4:5]
	v_add_f64 v[2:3], v[0:1], -v[2:3]
	v_add_f64 v[82:83], v[106:107], v[82:83]
	v_add_f64 v[0:1], v[223:224], v[0:1]
	;; [unrolled: 1-line block ×4, first 2 shown]
	v_mul_f64 v[205:206], v[225:226], s[18:19]
	v_mul_f64 v[223:224], v[227:228], s[18:19]
	v_fma_f64 v[86:87], v[86:87], s[16:17], v[114:115]
	v_fma_f64 v[116:117], v[203:204], s[6:7], -v[116:117]
	v_fma_f64 v[114:115], v[203:204], s[8:9], -v[114:115]
	v_mul_f64 v[203:204], v[78:79], s[2:3]
	v_fma_f64 v[218:219], v[218:219], s[16:17], v[173:174]
	v_fma_f64 v[191:192], v[216:217], s[6:7], -v[191:192]
	v_fma_f64 v[173:174], v[216:217], s[8:9], -v[173:174]
	v_mul_f64 v[216:217], v[112:113], s[2:3]
	v_fma_f64 v[72:73], v[72:73], s[20:21], v[164:165]
	v_fma_f64 v[76:77], v[76:77], s[20:21], v[106:107]
	v_fma_f64 v[78:79], v[78:79], s[2:3], -v[205:206]
	v_fma_f64 v[205:206], v[4:5], s[24:25], v[205:206]
	v_fma_f64 v[4:5], v[4:5], s[22:23], -v[203:204]
	v_fma_f64 v[112:113], v[112:113], s[2:3], -v[223:224]
	v_fma_f64 v[223:224], v[2:3], s[24:25], v[223:224]
	v_fma_f64 v[2:3], v[2:3], s[22:23], -v[216:217]
	v_add_f64 v[86:87], v[86:87], v[72:73]
	v_add_f64 v[216:217], v[218:219], v[76:77]
	;; [unrolled: 1-line block ×6, first 2 shown]
	v_fma_f64 v[114:115], v[0:1], s[14:15], v[223:224]
	v_fma_f64 v[2:3], v[0:1], s[14:15], v[2:3]
	;; [unrolled: 1-line block ×5, first 2 shown]
	buffer_load_dword v183, off, s[36:39], 0 offset:32 ; 4-byte Folded Reload
	buffer_load_dword v184, off, s[36:39], 0 offset:36 ; 4-byte Folded Reload
	;; [unrolled: 1-line block ×4, first 2 shown]
	v_add_f64 v[80:81], v[209:210], v[181:182]
	v_fma_f64 v[173:174], v[82:83], s[14:15], v[205:206]
	v_add_f64 v[82:83], v[181:182], -v[209:210]
	v_add_f64 v[112:113], v[114:115], v[86:87]
	v_add_f64 v[181:182], v[2:3], v[72:73]
	v_add_f64 v[205:206], v[76:77], -v[4:5]
	v_add_f64 v[209:210], v[116:117], -v[0:1]
	v_add_f64 v[218:219], v[78:79], v[191:192]
	v_add_f64 v[0:1], v[0:1], v[116:117]
	v_add_f64 v[116:117], v[191:192], -v[78:79]
	v_add_f64 v[2:3], v[72:73], -v[2:3]
	v_add_f64 v[191:192], v[4:5], v[76:77]
	v_add_f64 v[4:5], v[86:87], -v[114:115]
	v_add_f64 v[72:73], v[118:119], v[136:137]
	v_add_f64 v[76:77], v[120:121], v[138:139]
	v_add_f64 v[78:79], v[118:119], -v[136:137]
	v_add_f64 v[114:115], v[68:69], v[128:129]
	v_add_f64 v[118:119], v[70:71], v[134:135]
	v_add_f64 v[86:87], v[120:121], -v[138:139]
	v_add_f64 v[68:69], v[68:69], -v[128:129]
	;; [unrolled: 1-line block ×3, first 2 shown]
	v_add_f64 v[120:121], v[64:65], v[66:67]
	v_add_f64 v[128:129], v[74:75], v[122:123]
	v_add_f64 v[64:65], v[66:67], -v[64:65]
	v_add_f64 v[66:67], v[122:123], -v[74:75]
	v_add_f64 v[74:75], v[114:115], v[72:73]
	v_add_f64 v[122:123], v[118:119], v[76:77]
	v_add_f64 v[134:135], v[114:115], -v[72:73]
	v_add_f64 v[136:137], v[118:119], -v[76:77]
	;; [unrolled: 1-line block ×6, first 2 shown]
	v_add_f64 v[138:139], v[64:65], v[68:69]
	v_add_f64 v[223:224], v[66:67], v[70:71]
	;; [unrolled: 1-line block ×3, first 2 shown]
	v_add_f64 v[120:121], v[64:65], -v[68:69]
	v_add_f64 v[122:123], v[128:129], v[122:123]
	v_add_f64 v[128:129], v[66:67], -v[70:71]
	v_add_f64 v[68:69], v[68:69], -v[78:79]
	;; [unrolled: 1-line block ×5, first 2 shown]
	v_add_f64 v[78:79], v[138:139], v[78:79]
	v_add_f64 v[86:87], v[223:224], v[86:87]
	;; [unrolled: 1-line block ×4, first 2 shown]
	v_mul_f64 v[72:73], v[72:73], s[4:5]
	v_mul_f64 v[76:77], v[76:77], s[4:5]
	;; [unrolled: 1-line block ×8, first 2 shown]
	v_fma_f64 v[74:75], v[74:75], s[20:21], v[138:139]
	v_fma_f64 v[122:123], v[122:123], s[20:21], v[166:167]
	;; [unrolled: 1-line block ×4, first 2 shown]
	v_fma_f64 v[207:208], v[134:135], s[6:7], -v[207:208]
	v_fma_f64 v[223:224], v[136:137], s[6:7], -v[223:224]
	v_fma_f64 v[72:73], v[134:135], s[8:9], -v[72:73]
	v_fma_f64 v[76:77], v[136:137], s[8:9], -v[76:77]
	v_fma_f64 v[134:135], v[64:65], s[24:25], v[120:121]
	v_fma_f64 v[136:137], v[66:67], s[24:25], v[128:129]
	v_fma_f64 v[68:69], v[68:69], s[2:3], -v[120:121]
	v_fma_f64 v[66:67], v[66:67], s[22:23], -v[227:228]
	;; [unrolled: 1-line block ×4, first 2 shown]
	v_add_f64 v[114:115], v[114:115], v[74:75]
	v_add_f64 v[120:121], v[207:208], v[74:75]
	;; [unrolled: 1-line block ×5, first 2 shown]
	v_fma_f64 v[66:67], v[86:87], s[14:15], v[66:67]
	v_fma_f64 v[64:65], v[78:79], s[14:15], v[64:65]
	;; [unrolled: 1-line block ×3, first 2 shown]
	v_add_f64 v[203:204], v[94:95], -v[170:171]
	v_add_f64 v[94:95], v[170:171], v[94:95]
	v_add_f64 v[170:171], v[216:217], -v[173:174]
	v_fma_f64 v[76:77], v[86:87], s[14:15], v[136:137]
	v_fma_f64 v[70:71], v[86:87], s[14:15], v[70:71]
	v_add_f64 v[86:87], v[173:174], v[216:217]
	v_fma_f64 v[78:79], v[78:79], s[14:15], v[134:135]
	v_add_f64 v[134:135], v[66:67], v[72:73]
	v_add_f64 v[136:137], v[74:75], -v[64:65]
	v_add_f64 v[207:208], v[68:69], v[128:129]
	v_add_f64 v[216:217], v[128:129], -v[68:69]
	v_add_f64 v[66:67], v[72:73], -v[66:67]
	v_add_f64 v[223:224], v[64:65], v[74:75]
	v_add_f64 v[64:65], v[48:49], v[229:230]
	;; [unrolled: 1-line block ×5, first 2 shown]
	v_add_f64 v[173:174], v[120:121], -v[70:71]
	v_add_f64 v[70:71], v[70:71], v[120:121]
	v_add_f64 v[120:121], v[142:143], -v[152:153]
	v_add_f64 v[128:129], v[144:145], -v[154:155]
	v_add_f64 v[142:143], v[140:141], v[156:157]
	v_add_f64 v[144:145], v[146:147], v[158:159]
	;; [unrolled: 1-line block ×4, first 2 shown]
	v_add_f64 v[48:49], v[48:49], -v[229:230]
	v_add_f64 v[52:53], v[52:53], -v[235:236]
	v_add_f64 v[140:141], v[156:157], -v[140:141]
	v_add_f64 v[146:147], v[158:159], -v[146:147]
	v_add_f64 v[156:157], v[72:73], -v[64:65]
	v_add_f64 v[158:159], v[74:75], -v[68:69]
	v_add_f64 v[64:65], v[64:65], -v[142:143]
	v_add_f64 v[68:69], v[68:69], -v[144:145]
	v_add_f64 v[72:73], v[142:143], -v[72:73]
	v_add_f64 v[74:75], v[144:145], -v[74:75]
	v_add_f64 v[142:143], v[142:143], v[152:153]
	v_add_f64 v[144:145], v[144:145], v[154:155]
	v_add_f64 v[225:226], v[140:141], v[120:121]
	v_add_f64 v[227:228], v[146:147], v[128:129]
	v_add_f64 v[229:230], v[140:141], -v[120:121]
	v_add_f64 v[231:232], v[146:147], -v[128:129]
	;; [unrolled: 1-line block ×4, first 2 shown]
	v_mul_f64 v[64:65], v[64:65], s[4:5]
	v_mul_f64 v[152:153], v[72:73], s[16:17]
	s_waitcnt vmcnt(2)
	v_add_f64 v[154:155], v[183:184], v[142:143]
	v_add_f64 v[183:184], v[16:17], v[144:145]
	v_mul_f64 v[16:17], v[68:69], s[4:5]
	v_mul_f64 v[68:69], v[74:75], s[16:17]
	v_add_f64 v[140:141], v[48:49], -v[140:141]
	v_add_f64 v[146:147], v[52:53], -v[146:147]
	v_add_f64 v[48:49], v[225:226], v[48:49]
	v_add_f64 v[52:53], v[227:228], v[52:53]
	v_mul_f64 v[225:226], v[229:230], s[18:19]
	v_mul_f64 v[227:228], v[231:232], s[18:19]
	v_fma_f64 v[72:73], v[72:73], s[16:17], v[64:65]
	v_fma_f64 v[152:153], v[156:157], s[6:7], -v[152:153]
	v_fma_f64 v[64:65], v[156:157], s[8:9], -v[64:65]
	v_mul_f64 v[156:157], v[120:121], s[2:3]
	v_fma_f64 v[74:75], v[74:75], s[16:17], v[16:17]
	v_fma_f64 v[68:69], v[158:159], s[6:7], -v[68:69]
	v_fma_f64 v[16:17], v[158:159], s[8:9], -v[16:17]
	v_mul_f64 v[158:159], v[128:129], s[2:3]
	v_fma_f64 v[142:143], v[142:143], s[20:21], v[154:155]
	v_fma_f64 v[144:145], v[144:145], s[20:21], v[183:184]
	v_fma_f64 v[120:121], v[120:121], s[2:3], -v[225:226]
	v_fma_f64 v[225:226], v[140:141], s[24:25], v[225:226]
	v_fma_f64 v[140:141], v[140:141], s[22:23], -v[156:157]
	v_fma_f64 v[128:129], v[128:129], s[2:3], -v[227:228]
	v_fma_f64 v[227:228], v[146:147], s[24:25], v[227:228]
	v_fma_f64 v[146:147], v[146:147], s[22:23], -v[158:159]
	v_add_f64 v[118:119], v[118:119], v[122:123]
	v_add_f64 v[72:73], v[72:73], v[142:143]
	;; [unrolled: 1-line block ×7, first 2 shown]
	v_fma_f64 v[142:143], v[52:53], s[14:15], v[227:228]
	v_fma_f64 v[144:145], v[48:49], s[14:15], v[225:226]
	v_fma_f64 v[146:147], v[52:53], s[14:15], v[146:147]
	v_fma_f64 v[140:141], v[48:49], s[14:15], v[140:141]
	v_fma_f64 v[52:53], v[52:53], s[14:15], v[128:129]
	v_fma_f64 v[48:49], v[48:49], s[14:15], v[120:121]
	v_add_f64 v[156:157], v[118:119], -v[78:79]
	v_add_f64 v[158:159], v[78:79], v[118:119]
	v_add_f64 v[122:123], v[76:77], v[114:115]
	v_add_f64 v[76:77], v[114:115], -v[76:77]
	v_add_f64 v[114:115], v[146:147], v[64:65]
	v_add_f64 v[227:228], v[16:17], -v[140:141]
	v_add_f64 v[118:119], v[152:153], -v[52:53]
	v_add_f64 v[229:230], v[48:49], v[68:69]
	v_add_f64 v[52:53], v[52:53], v[152:153]
	v_add_f64 v[152:153], v[68:69], -v[48:49]
	v_add_f64 v[140:141], v[140:141], v[16:17]
	v_add_f64 v[16:17], v[130:131], v[124:125]
	v_add_f64 v[68:69], v[130:131], -v[124:125]
	v_add_f64 v[124:125], v[40:41], v[221:222]
	v_add_f64 v[48:49], v[64:65], -v[146:147]
	;; [unrolled: 2-line block ×4, first 2 shown]
	v_add_f64 v[44:45], v[44:45], -v[201:202]
	v_add_f64 v[128:129], v[148:149], v[60:61]
	v_add_f64 v[130:131], v[150:151], v[62:63]
	v_add_f64 v[60:61], v[60:61], -v[148:149]
	v_add_f64 v[62:63], v[62:63], -v[150:151]
	v_add_f64 v[132:133], v[124:125], v[16:17]
	v_add_f64 v[146:147], v[126:127], v[64:65]
	v_add_f64 v[148:149], v[124:125], -v[16:17]
	v_add_f64 v[150:151], v[126:127], -v[64:65]
	;; [unrolled: 1-line block ×4, first 2 shown]
	v_add_f64 v[201:202], v[60:61], v[40:41]
	v_add_f64 v[64:65], v[64:65], -v[130:131]
	v_add_f64 v[128:129], v[128:129], v[132:133]
	v_add_f64 v[132:133], v[62:63], v[44:45]
	v_add_f64 v[126:127], v[130:131], -v[126:127]
	v_add_f64 v[130:131], v[130:131], v[146:147]
	v_add_f64 v[146:147], v[60:61], -v[40:41]
	v_add_f64 v[60:61], v[68:69], -v[60:61]
	;; [unrolled: 1-line block ×3, first 2 shown]
	v_add_f64 v[68:69], v[201:202], v[68:69]
	v_add_f64 v[201:202], v[62:63], -v[44:45]
	v_add_f64 v[62:63], v[120:121], -v[62:63]
	;; [unrolled: 1-line block ×3, first 2 shown]
	v_add_f64 v[120:121], v[132:133], v[120:121]
	s_waitcnt vmcnt(0)
	v_add_f64 v[132:133], v[185:186], v[128:129]
	v_mul_f64 v[16:17], v[16:17], s[4:5]
	v_mul_f64 v[185:186], v[124:125], s[16:17]
	s_waitcnt lgkmcnt(0)
	; wave barrier
	buffer_load_dword v10, off, s[36:39], 0 offset:4 ; 4-byte Folded Reload
	v_add_f64 v[220:221], v[18:19], v[130:131]
	v_mul_f64 v[18:19], v[64:65], s[4:5]
	v_mul_f64 v[64:65], v[126:127], s[16:17]
	;; [unrolled: 1-line block ×5, first 2 shown]
	v_fma_f64 v[124:125], v[124:125], s[16:17], v[16:17]
	v_fma_f64 v[185:186], v[148:149], s[6:7], -v[185:186]
	v_fma_f64 v[16:17], v[148:149], s[8:9], -v[16:17]
	v_mul_f64 v[148:149], v[44:45], s[2:3]
	v_fma_f64 v[128:129], v[128:129], s[20:21], v[132:133]
	v_fma_f64 v[130:131], v[130:131], s[20:21], v[220:221]
	;; [unrolled: 1-line block ×3, first 2 shown]
	v_fma_f64 v[64:65], v[150:151], s[6:7], -v[64:65]
	v_fma_f64 v[18:19], v[150:151], s[8:9], -v[18:19]
	v_fma_f64 v[150:151], v[60:61], s[24:25], v[146:147]
	v_fma_f64 v[40:41], v[40:41], s[2:3], -v[146:147]
	v_fma_f64 v[146:147], v[62:63], s[24:25], v[201:202]
	v_fma_f64 v[44:45], v[44:45], s[2:3], -v[201:202]
	v_fma_f64 v[60:61], v[60:61], s[22:23], -v[231:232]
	;; [unrolled: 1-line block ×3, first 2 shown]
	v_add_f64 v[148:149], v[185:186], v[128:129]
	v_add_f64 v[64:65], v[64:65], v[130:131]
	;; [unrolled: 1-line block ×4, first 2 shown]
	v_fma_f64 v[40:41], v[68:69], s[14:15], v[40:41]
	v_fma_f64 v[44:45], v[120:121], s[14:15], v[44:45]
	;; [unrolled: 1-line block ×4, first 2 shown]
	v_add_f64 v[78:79], v[142:143], v[72:73]
	v_add_f64 v[225:226], v[74:75], -v[144:145]
	v_add_f64 v[124:125], v[124:125], v[128:129]
	v_add_f64 v[126:127], v[126:127], v[130:131]
	v_fma_f64 v[128:129], v[120:121], s[14:15], v[146:147]
	v_fma_f64 v[130:131], v[68:69], s[14:15], v[150:151]
	v_add_f64 v[68:69], v[72:73], -v[142:143]
	v_add_f64 v[142:143], v[144:145], v[74:75]
	v_add_f64 v[74:75], v[62:63], v[16:17]
	v_add_f64 v[146:147], v[18:19], -v[60:61]
	v_add_f64 v[120:121], v[148:149], -v[44:45]
	v_add_f64 v[150:151], v[40:41], v[64:65]
	v_add_f64 v[44:45], v[44:45], v[148:149]
	v_add_f64 v[148:149], v[64:65], -v[40:41]
	v_add_f64 v[16:17], v[16:17], -v[62:63]
	v_add_f64 v[185:186], v[60:61], v[18:19]
	v_add_f64 v[18:19], v[36:37], v[214:215]
	;; [unrolled: 1-line block ×5, first 2 shown]
	v_add_f64 v[36:37], v[36:37], -v[214:215]
	v_add_f64 v[20:21], v[24:25], -v[20:21]
	;; [unrolled: 1-line block ×3, first 2 shown]
	v_add_f64 v[24:25], v[28:29], v[34:35]
	v_add_f64 v[26:27], v[30:31], v[42:43]
	v_add_f64 v[28:29], v[34:35], -v[28:29]
	v_add_f64 v[30:31], v[42:43], -v[30:31]
	v_add_f64 v[34:35], v[60:61], v[18:19]
	v_add_f64 v[42:43], v[62:63], v[40:41]
	v_add_f64 v[38:39], v[38:39], -v[212:213]
	v_add_f64 v[64:65], v[60:61], -v[18:19]
	v_add_f64 v[201:202], v[62:63], -v[40:41]
	v_add_f64 v[18:19], v[18:19], -v[24:25]
	v_add_f64 v[40:41], v[40:41], -v[26:27]
	v_add_f64 v[60:61], v[24:25], -v[60:61]
	v_add_f64 v[62:63], v[26:27], -v[62:63]
	v_add_f64 v[212:213], v[28:29], v[20:21]
	v_add_f64 v[214:215], v[30:31], v[22:23]
	v_add_f64 v[231:232], v[28:29], -v[20:21]
	v_add_f64 v[24:25], v[24:25], v[34:35]
	v_add_f64 v[26:27], v[26:27], v[42:43]
	v_add_f64 v[20:21], v[20:21], -v[36:37]
	v_add_f64 v[34:35], v[30:31], -v[22:23]
	;; [unrolled: 1-line block ×5, first 2 shown]
	v_add_f64 v[36:37], v[212:213], v[36:37]
	v_add_f64 v[38:39], v[214:215], v[38:39]
	;; [unrolled: 1-line block ×4, first 2 shown]
	v_mul_f64 v[18:19], v[18:19], s[4:5]
	v_mul_f64 v[32:33], v[40:41], s[4:5]
	;; [unrolled: 1-line block ×7, first 2 shown]
	v_fma_f64 v[24:25], v[24:25], s[20:21], v[6:7]
	v_fma_f64 v[26:27], v[26:27], s[20:21], v[212:213]
	;; [unrolled: 1-line block ×4, first 2 shown]
	v_fma_f64 v[40:41], v[64:65], s[6:7], -v[40:41]
	v_fma_f64 v[18:19], v[64:65], s[8:9], -v[18:19]
	;; [unrolled: 1-line block ×3, first 2 shown]
	v_fma_f64 v[64:65], v[28:29], s[24:25], v[214:215]
	v_fma_f64 v[28:29], v[28:29], s[22:23], -v[231:232]
	v_mul_f64 v[233:234], v[22:23], s[2:3]
	v_fma_f64 v[42:43], v[201:202], s[6:7], -v[42:43]
	v_fma_f64 v[201:202], v[30:31], s[24:25], v[34:35]
	v_fma_f64 v[22:23], v[22:23], s[2:3], -v[34:35]
	v_add_f64 v[34:35], v[60:61], v[24:25]
	v_add_f64 v[40:41], v[40:41], v[24:25]
	;; [unrolled: 1-line block ×4, first 2 shown]
	v_fma_f64 v[28:29], v[36:37], s[14:15], v[28:29]
	v_fma_f64 v[20:21], v[20:21], s[2:3], -v[214:215]
	v_fma_f64 v[30:31], v[30:31], s[22:23], -v[233:234]
	v_add_f64 v[60:61], v[62:63], v[26:27]
	v_add_f64 v[42:43], v[42:43], v[26:27]
	v_fma_f64 v[26:27], v[38:39], s[14:15], v[201:202]
	v_fma_f64 v[22:23], v[38:39], s[14:15], v[22:23]
	v_add_f64 v[72:73], v[128:129], v[124:125]
	v_add_f64 v[214:215], v[24:25], -v[28:29]
	v_add_f64 v[235:236], v[28:29], v[24:25]
	s_waitcnt vmcnt(0)
	v_mul_u32_u24_e32 v24, 0x188, v10
	buffer_load_dword v10, off, s[36:39], 0 offset:8 ; 4-byte Folded Reload
	v_fma_f64 v[20:21], v[36:37], s[14:15], v[20:21]
	v_mov_b32_e32 v25, 3
	v_fma_f64 v[30:31], v[38:39], s[14:15], v[30:31]
	v_add_f64 v[38:39], v[26:27], v[34:35]
	v_fma_f64 v[32:33], v[36:37], s[14:15], v[64:65]
	v_add_f64 v[36:37], v[124:125], -v[128:129]
	v_add_f64 v[144:145], v[126:127], -v[130:131]
	v_add_f64 v[129:130], v[130:131], v[126:127]
	v_add_f64 v[231:232], v[20:21], v[42:43]
	v_add_f64 v[233:234], v[42:43], -v[20:21]
	v_add_f64 v[20:21], v[34:35], -v[26:27]
	v_add_f64 v[62:63], v[30:31], v[18:19]
	v_add_f64 v[64:65], v[40:41], -v[22:23]
	v_add_f64 v[22:23], v[22:23], v[40:41]
	v_add_f64 v[18:19], v[18:19], -v[30:31]
	v_add_f64 v[201:202], v[60:61], -v[32:33]
	v_add_f64 v[237:238], v[32:33], v[60:61]
	s_waitcnt vmcnt(0)
	v_lshlrev_b32_sdwa v26, v25, v10 dst_sel:DWORD dst_unused:UNUSED_PAD src0_sel:DWORD src1_sel:BYTE_0
	v_add3_u32 v124, 0, v24, v26
	ds_write2_b64 v124, v[8:9], v[12:13] offset1:7
	ds_write2_b64 v124, v[46:47], v[50:51] offset0:14 offset1:21
	ds_write2_b64 v124, v[54:55], v[56:57] offset0:28 offset1:35
	ds_write_b64 v124, v[58:59] offset:336
	buffer_load_dword v8, off, s[36:39], 0 offset:24 ; 4-byte Folded Reload
	buffer_load_dword v9, off, s[36:39], 0 offset:28 ; 4-byte Folded Reload
	s_waitcnt vmcnt(1)
	v_mul_u32_u24_e32 v8, 0x188, v8
	s_waitcnt vmcnt(0)
	v_lshlrev_b32_sdwa v9, v25, v9 dst_sel:DWORD dst_unused:UNUSED_PAD src0_sel:DWORD src1_sel:BYTE_0
	v_add3_u32 v131, 0, v8, v9
	ds_write2_b64 v131, v[14:15], v[80:81] offset1:7
	ds_write2_b64 v131, v[84:85], v[160:161] offset0:14 offset1:21
	ds_write2_b64 v131, v[179:180], v[90:91] offset0:28 offset1:35
	ds_write_b64 v131, v[82:83] offset:336
	buffer_load_dword v8, off, s[36:39], 0 offset:48 ; 4-byte Folded Reload
	buffer_load_dword v9, off, s[36:39], 0 offset:52 ; 4-byte Folded Reload
	s_waitcnt vmcnt(1)
	v_mul_u32_u24_e32 v8, 0x188, v8
	s_waitcnt vmcnt(0)
	v_lshlrev_b32_sdwa v9, v25, v9 dst_sel:DWORD dst_unused:UNUSED_PAD src0_sel:DWORD src1_sel:BYTE_0
	v_add3_u32 v90, 0, v8, v9
	ds_write2_b64 v90, v[164:165], v[112:113] offset1:7
	ds_write2_b64 v90, v[181:182], v[209:210] offset0:14 offset1:21
	ds_write2_b64 v90, v[0:1], v[2:3] offset0:28 offset1:35
	ds_write_b64 v90, v[4:5] offset:336
	buffer_load_dword v0, off, s[36:39], 0 offset:56 ; 4-byte Folded Reload
	buffer_load_dword v1, off, s[36:39], 0 offset:60 ; 4-byte Folded Reload
	v_add_u32_e32 v5, 0x2000, v188
	v_add_u32_e32 v165, 0xc00, v188
	v_mov_b32_e32 v4, v241
	s_waitcnt vmcnt(1)
	v_mul_u32_u24_e32 v0, 0x188, v0
	s_waitcnt vmcnt(0)
	v_lshlrev_b32_sdwa v1, v25, v1 dst_sel:DWORD dst_unused:UNUSED_PAD src0_sel:DWORD src1_sel:BYTE_0
	v_add3_u32 v91, 0, v0, v1
	ds_write2_b64 v91, v[138:139], v[122:123] offset1:7
	ds_write2_b64 v91, v[134:135], v[173:174] offset0:14 offset1:21
	ds_write2_b64 v91, v[70:71], v[66:67] offset0:28 offset1:35
	ds_write_b64 v91, v[76:77] offset:336
	buffer_load_dword v0, off, s[36:39], 0 offset:64 ; 4-byte Folded Reload
	buffer_load_dword v1, off, s[36:39], 0 offset:68 ; 4-byte Folded Reload
	s_waitcnt vmcnt(1)
	v_mul_u32_u24_e32 v0, 0x188, v0
	s_waitcnt vmcnt(0)
	v_lshlrev_b32_sdwa v1, v25, v1 dst_sel:DWORD dst_unused:UNUSED_PAD src0_sel:DWORD src1_sel:BYTE_0
	v_add3_u32 v122, 0, v0, v1
	v_mul_u32_u24_e32 v0, 0x188, v211
	v_lshlrev_b32_e32 v1, 3, v193
	v_add3_u32 v123, 0, v0, v1
	v_mul_u32_u24_e32 v0, 0x188, v194
	v_lshlrev_b32_e32 v1, 3, v195
	ds_write2_b64 v122, v[154:155], v[78:79] offset1:7
	ds_write2_b64 v122, v[114:115], v[118:119] offset0:14 offset1:21
	ds_write2_b64 v122, v[52:53], v[48:49] offset0:28 offset1:35
	ds_write_b64 v122, v[68:69] offset:336
	ds_write2_b64 v123, v[132:133], v[72:73] offset1:7
	ds_write2_b64 v123, v[74:75], v[120:121] offset0:14 offset1:21
	ds_write2_b64 v123, v[44:45], v[16:17] offset0:28 offset1:35
	ds_write_b64 v123, v[36:37] offset:336
	v_add3_u32 v132, 0, v0, v1
	ds_write2_b64 v132, v[6:7], v[38:39] offset1:7
	ds_write2_b64 v132, v[62:63], v[64:65] offset0:14 offset1:21
	ds_write2_b64 v132, v[22:23], v[18:19] offset0:28 offset1:35
	ds_write_b64 v132, v[20:21] offset:336
	v_add_u32_e32 v7, 0x1000, v188
	v_add_u32_e32 v6, 0x3400, v188
	;; [unrolled: 1-line block ×3, first 2 shown]
	s_waitcnt lgkmcnt(0)
	; wave barrier
	s_waitcnt lgkmcnt(0)
	ds_read2_b64 v[12:15], v188 offset1:49
	ds_read2_b64 v[0:3], v243 offset0:38 offset1:87
	ds_read2_b64 v[112:115], v7 offset0:174 offset1:223
	;; [unrolled: 1-line block ×17, first 2 shown]
	s_waitcnt lgkmcnt(0)
	buffer_store_dword v20, off, s[36:39], 0 offset:8 ; 4-byte Folded Spill
	s_nop 0
	buffer_store_dword v21, off, s[36:39], 0 offset:12 ; 4-byte Folded Spill
	buffer_store_dword v22, off, s[36:39], 0 offset:16 ; 4-byte Folded Spill
	;; [unrolled: 1-line block ×3, first 2 shown]
	ds_read2_b64 v[56:59], v195 offset0:114 offset1:163
	ds_read2_b64 v[52:55], v241 offset0:32 offset1:81
	;; [unrolled: 1-line block ×6, first 2 shown]
	ds_read_b64 v[84:85], v188 offset:18816
	s_waitcnt lgkmcnt(0)
	; wave barrier
	s_waitcnt lgkmcnt(0)
	ds_write2_b64 v124, v[189:190], v[88:89] offset1:7
	ds_write2_b64 v124, v[162:163], v[92:93] offset0:14 offset1:21
	ds_write2_b64 v124, v[177:178], v[96:97] offset0:28 offset1:35
	ds_write_b64 v124, v[100:101] offset:336
	ds_write2_b64 v131, v[98:99], v[203:204] offset1:7
	ds_write2_b64 v131, v[102:103], v[104:105] offset0:14 offset1:21
	ds_write2_b64 v131, v[108:109], v[110:111] offset0:28 offset1:35
	ds_write_b64 v131, v[94:95] offset:336
	;; [unrolled: 4-line block ×7, first 2 shown]
	v_mul_u32_u24_e32 v86, 6, v253
	v_lshlrev_b32_e32 v124, 4, v86
	s_waitcnt lgkmcnt(0)
	; wave barrier
	s_waitcnt lgkmcnt(0)
	global_load_dwordx4 v[86:89], v124, s[12:13] offset:688
	global_load_dwordx4 v[100:103], v124, s[12:13] offset:720
	;; [unrolled: 1-line block ×3, first 2 shown]
	v_mul_lo_u16_sdwa v90, v169, s28 dst_sel:DWORD dst_unused:UNUSED_PAD src0_sel:BYTE_0 src1_sel:DWORD
	v_sub_u16_sdwa v91, v169, v90 dst_sel:DWORD dst_unused:UNUSED_PAD src0_sel:DWORD src1_sel:BYTE_1
	v_lshrrev_b16_e32 v91, 1, v91
	v_and_b32_e32 v91, 0x7f, v91
	v_add_u16_sdwa v90, v91, v90 dst_sel:DWORD dst_unused:UNUSED_PAD src0_sel:DWORD src1_sel:BYTE_1
	v_lshrrev_b16_e32 v90, 5, v90
	v_mul_lo_u16_e32 v90, 49, v90
	v_sub_u16_e32 v90, v169, v90
	v_and_b32_e32 v90, 0xff, v90
	buffer_store_dword v90, off, s[36:39], 0 offset:4 ; 4-byte Folded Spill
	v_mul_u32_u24_e32 v90, 6, v90
	v_lshlrev_b32_e32 v116, 4, v90
	v_mul_lo_u16_sdwa v90, v175, s28 dst_sel:DWORD dst_unused:UNUSED_PAD src0_sel:BYTE_0 src1_sel:DWORD
	v_sub_u16_sdwa v91, v175, v90 dst_sel:DWORD dst_unused:UNUSED_PAD src0_sel:DWORD src1_sel:BYTE_1
	v_lshrrev_b16_e32 v91, 1, v91
	v_and_b32_e32 v91, 0x7f, v91
	v_add_u16_sdwa v90, v91, v90 dst_sel:DWORD dst_unused:UNUSED_PAD src0_sel:DWORD src1_sel:BYTE_1
	v_lshrrev_b16_e32 v90, 5, v90
	v_mul_lo_u16_e32 v90, 49, v90
	v_sub_u16_e32 v90, v175, v90
	v_and_b32_e32 v90, 0xff, v90
	global_load_dwordx4 v[133:136], v116, s[12:13] offset:720
	global_load_dwordx4 v[137:140], v116, s[12:13] offset:688
	v_mov_b32_e32 v5, v176
	buffer_store_dword v90, off, s[36:39], 0 offset:24 ; 4-byte Folded Spill
	v_mul_u32_u24_e32 v90, 6, v90
	v_lshlrev_b32_e32 v117, 4, v90
	global_load_dwordx4 v[141:144], v117, s[12:13] offset:688
	ds_read2_b64 v[104:107], v7 offset0:174 offset1:223
	ds_read2_b64 v[145:148], v187 offset0:92 offset1:141
	global_load_dwordx4 v[149:152], v124, s[12:13] offset:704
	global_load_dwordx4 v[153:156], v117, s[12:13] offset:720
	;; [unrolled: 1-line block ×3, first 2 shown]
	ds_read2_b64 v[177:180], v172 offset0:10 offset1:59
	ds_read2_b64 v[183:186], v195 offset0:16 offset1:65
	;; [unrolled: 1-line block ×4, first 2 shown]
	global_load_dwordx4 v[205:208], v124, s[12:13] offset:736
	global_load_dwordx4 v[209:212], v116, s[12:13] offset:752
	;; [unrolled: 1-line block ×4, first 2 shown]
	s_waitcnt vmcnt(14)
	v_mul_f64 v[92:93], v[112:113], v[88:89]
	s_waitcnt vmcnt(13) lgkmcnt(4)
	v_mul_f64 v[96:97], v[145:146], v[102:103]
	v_mul_f64 v[90:91], v[104:105], v[88:89]
	v_mul_f64 v[108:109], v[114:115], v[88:89]
	v_mul_f64 v[161:162], v[120:121], v[102:103]
	s_waitcnt vmcnt(12) lgkmcnt(3)
	v_mul_f64 v[163:164], v[179:180], v[131:132]
	v_fma_f64 v[98:99], v[104:105], v[86:87], -v[92:93]
	v_fma_f64 v[92:93], v[118:119], v[100:101], v[96:97]
	v_mul_lo_u16_sdwa v96, v168, s28 dst_sel:DWORD dst_unused:UNUSED_PAD src0_sel:BYTE_0 src1_sel:DWORD
	v_sub_u16_sdwa v97, v168, v96 dst_sel:DWORD dst_unused:UNUSED_PAD src0_sel:DWORD src1_sel:BYTE_1
	v_fma_f64 v[94:95], v[112:113], v[86:87], v[90:91]
	v_mul_f64 v[90:91], v[118:119], v[102:103]
	v_lshrrev_b16_e32 v97, 1, v97
	v_and_b32_e32 v97, 0x7f, v97
	v_add_u16_sdwa v96, v97, v96 dst_sel:DWORD dst_unused:UNUSED_PAD src0_sel:DWORD src1_sel:BYTE_1
	v_lshrrev_b16_e32 v96, 5, v96
	v_mul_lo_u16_e32 v96, 49, v96
	v_sub_u16_e32 v96, v168, v96
	v_and_b32_e32 v96, 0xff, v96
	buffer_store_dword v96, off, s[36:39], 0 offset:28 ; 4-byte Folded Spill
	v_mul_u32_u24_e32 v96, 6, v96
	v_lshlrev_b32_e32 v119, 4, v96
	v_mul_f64 v[96:97], v[177:178], v[131:132]
	v_fma_f64 v[122:123], v[145:146], v[100:101], -v[90:91]
	v_mul_f64 v[104:105], v[106:107], v[88:89]
	v_mul_f64 v[145:146], v[147:148], v[102:103]
	global_load_dwordx4 v[166:169], v119, s[12:13] offset:688
	global_load_dwordx4 v[221:224], v119, s[12:13] offset:672
	;; [unrolled: 1-line block ×3, first 2 shown]
	v_fma_f64 v[112:113], v[106:107], v[86:87], -v[108:109]
	v_fma_f64 v[108:109], v[147:148], v[100:101], -v[161:162]
	v_fma_f64 v[170:171], v[125:126], v[129:130], v[96:97]
	v_mul_f64 v[96:97], v[125:126], v[131:132]
	v_fma_f64 v[110:111], v[114:115], v[86:87], v[104:105]
	global_load_dwordx4 v[102:105], v117, s[12:13] offset:736
	v_fma_f64 v[106:107], v[120:121], v[100:101], v[145:146]
	v_fma_f64 v[114:115], v[127:128], v[129:130], v[163:164]
	global_load_dwordx4 v[145:148], v119, s[12:13] offset:720
	global_load_dwordx4 v[225:228], v119, s[12:13] offset:704
	v_mul_f64 v[86:87], v[127:128], v[131:132]
	global_load_dwordx4 v[125:128], v116, s[12:13] offset:704
	global_load_dwordx4 v[229:232], v116, s[12:13] offset:672
	;; [unrolled: 1-line block ×4, first 2 shown]
	buffer_load_dword v117, off, s[36:39], 0 ; 4-byte Folded Reload
	s_movk_i32 s28, 0x4e5f
	s_waitcnt vmcnt(22) lgkmcnt(1)
	v_mul_f64 v[131:132], v[189:190], v[135:136]
	v_mul_f64 v[135:136], v[76:77], v[135:136]
	s_waitcnt vmcnt(21)
	v_mul_f64 v[120:121], v[80:81], v[139:140]
	v_fma_f64 v[161:162], v[177:178], v[129:130], -v[96:97]
	v_fma_f64 v[163:164], v[179:180], v[129:130], -v[86:87]
	v_mul_u32_u24_sdwa v96, v200, s28 dst_sel:DWORD dst_unused:UNUSED_PAD src0_sel:WORD_0 src1_sel:DWORD
	v_sub_u16_sdwa v97, v200, v96 dst_sel:DWORD dst_unused:UNUSED_PAD src0_sel:DWORD src1_sel:WORD_1
	v_lshrrev_b16_e32 v97, 1, v97
	v_fma_f64 v[193:194], v[76:77], v[133:134], v[131:132]
	v_fma_f64 v[249:250], v[189:190], v[133:134], -v[135:136]
	v_add_u16_sdwa v96, v97, v96 dst_sel:DWORD dst_unused:UNUSED_PAD src0_sel:DWORD src1_sel:WORD_1
	v_lshrrev_b16_e32 v96, 5, v96
	v_mul_lo_u16_e32 v96, 49, v96
	v_fma_f64 v[181:182], v[183:184], v[137:138], -v[120:121]
	v_sub_u16_e32 v121, v200, v96
	v_mul_u32_u24_e32 v96, 6, v121
	s_waitcnt vmcnt(17)
	v_mul_f64 v[86:87], v[78:79], v[155:156]
	v_lshlrev_b32_e32 v253, 4, v96
	s_waitcnt vmcnt(14) lgkmcnt(0)
	v_mul_f64 v[96:97], v[201:202], v[211:212]
	v_mov_b32_e32 v118, v165
	v_fma_f64 v[254:255], v[191:192], v[153:154], -v[86:87]
	s_waitcnt vmcnt(0)
	v_mul_u32_u24_sdwa v100, v117, s28 dst_sel:DWORD dst_unused:UNUSED_PAD src0_sel:WORD_0 src1_sel:DWORD
	v_sub_u16_sdwa v101, v117, v100 dst_sel:DWORD dst_unused:UNUSED_PAD src0_sel:DWORD src1_sel:WORD_1
	v_lshrrev_b16_e32 v101, 1, v101
	v_add_u16_sdwa v100, v101, v100 dst_sel:DWORD dst_unused:UNUSED_PAD src0_sel:DWORD src1_sel:WORD_1
	v_lshrrev_b16_e32 v100, 5, v100
	v_mul_lo_u16_e32 v100, 49, v100
	v_sub_u16_e32 v175, v117, v100
	v_mul_u32_u24_e32 v100, 6, v175
	v_lshlrev_b32_e32 v176, 4, v100
	global_load_dwordx4 v[241:244], v176, s[12:13] offset:688
	global_load_dwordx4 v[245:248], v176, s[12:13] offset:720
	v_mul_f64 v[100:101], v[183:184], v[139:140]
	v_mul_f64 v[139:140], v[185:186], v[143:144]
	global_load_dwordx4 v[129:132], v176, s[12:13] offset:672
	global_load_dwordx4 v[133:136], v176, s[12:13] offset:752
	v_mul_f64 v[143:144], v[82:83], v[143:144]
	buffer_store_dword v200, off, s[36:39], 0 ; 4-byte Folded Spill
	v_add_u32_e32 v200, 0x2000, v188
	s_movk_i32 s28, 0x1000
	v_fma_f64 v[173:174], v[80:81], v[137:138], v[100:101]
	v_fma_f64 v[76:77], v[82:83], v[141:142], v[139:140]
	v_mul_f64 v[82:83], v[191:192], v[155:156]
	v_fma_f64 v[80:81], v[185:186], v[141:142], -v[143:144]
	global_load_dwordx4 v[137:140], v253, s[12:13] offset:672
	global_load_dwordx4 v[141:144], v116, s[12:13] offset:736
	v_mul_f64 v[100:101], v[72:73], v[211:212]
	global_load_dwordx4 v[177:180], v253, s[12:13] offset:688
	ds_read2_b64 v[183:186], v5 offset0:70 offset1:119
	ds_read2_b64 v[189:192], v195 offset0:114 offset1:163
	v_fma_f64 v[251:252], v[78:79], v[153:154], v[82:83]
	v_mul_f64 v[78:79], v[203:204], v[219:220]
	ds_read2_b64 v[153:156], v165 offset0:106 offset1:155
	v_mul_f64 v[82:83], v[74:75], v[219:220]
	v_fma_f64 v[219:220], v[72:73], v[209:210], v[96:97]
	v_mul_f64 v[96:97], v[68:69], v[215:216]
	v_fma_f64 v[116:117], v[201:202], v[209:210], -v[100:101]
	s_waitcnt lgkmcnt(0)
	v_mul_f64 v[86:87], v[153:154], v[215:216]
	v_mul_f64 v[100:101], v[66:67], v[227:228]
	v_fma_f64 v[119:120], v[74:75], v[217:218], v[78:79]
	ds_read2_b64 v[72:75], v200 offset0:152 offset1:201
	v_mul_f64 v[78:79], v[155:156], v[223:224]
	v_fma_f64 v[217:218], v[203:204], v[217:218], -v[82:83]
	global_load_dwordx4 v[201:204], v176, s[12:13] offset:704
	v_mul_f64 v[82:83], v[70:71], v[223:224]
	v_fma_f64 v[223:224], v[68:69], v[213:214], v[86:87]
	v_fma_f64 v[86:87], v[153:154], v[213:214], -v[96:97]
	s_waitcnt lgkmcnt(0)
	v_mul_f64 v[96:97], v[72:73], v[90:91]
	v_mul_f64 v[90:91], v[64:65], v[90:91]
	v_fma_f64 v[68:69], v[70:71], v[221:222], v[78:79]
	v_mul_f64 v[78:79], v[183:184], v[104:105]
	v_fma_f64 v[70:71], v[155:156], v[221:222], -v[82:83]
	v_mul_f64 v[82:83], v[60:61], v[104:105]
	ds_read2_b64 v[153:156], v4 offset0:32 offset1:81
	v_fma_f64 v[64:65], v[64:65], v[88:89], v[96:97]
	v_fma_f64 v[72:73], v[72:73], v[88:89], -v[90:91]
	v_mul_f64 v[88:89], v[189:190], v[168:169]
	v_mul_f64 v[96:97], v[74:75], v[227:228]
	v_fma_f64 v[60:61], v[60:61], v[102:103], v[78:79]
	v_mul_f64 v[90:91], v[56:57], v[168:169]
	v_fma_f64 v[78:79], v[183:184], v[102:103], -v[82:83]
	s_waitcnt lgkmcnt(0)
	v_mul_f64 v[102:103], v[153:154], v[147:148]
	v_fma_f64 v[221:222], v[56:57], v[166:167], v[88:89]
	v_fma_f64 v[82:83], v[66:67], v[225:226], v[96:97]
	v_mul_f64 v[56:57], v[185:186], v[239:240]
	v_mul_f64 v[66:67], v[62:63], v[239:240]
	v_fma_f64 v[88:89], v[189:190], v[166:167], -v[90:91]
	v_fma_f64 v[96:97], v[52:53], v[145:146], v[102:103]
	v_mul_f64 v[52:53], v[52:53], v[147:148]
	ds_read2_b64 v[165:168], v172 offset0:206 offset1:255
	v_fma_f64 v[90:91], v[74:75], v[225:226], -v[100:101]
	v_mov_b32_e32 v239, v5
	v_fma_f64 v[100:101], v[62:63], v[237:238], v[56:57]
	v_fma_f64 v[102:103], v[185:186], v[237:238], -v[66:67]
	global_load_dwordx4 v[183:186], v253, s[12:13] offset:720
	global_load_dwordx4 v[209:212], v253, s[12:13] offset:704
	s_waitcnt lgkmcnt(0)
	v_mul_f64 v[227:228], v[165:166], v[235:236]
	v_fma_f64 v[104:105], v[153:154], v[145:146], -v[52:53]
	global_load_dwordx4 v[145:148], v176, s[12:13] offset:736
	v_mul_f64 v[235:236], v[48:49], v[235:236]
	v_add_u32_e32 v176, 0x1c00, v188
	v_mov_b32_e32 v240, v7
	v_fma_f64 v[227:228], v[48:49], v[233:234], v[227:228]
	v_fma_f64 v[233:234], v[165:166], v[233:234], -v[235:236]
	s_waitcnt vmcnt(11)
	v_mul_f64 v[74:75], v[191:192], v[243:244]
	v_mul_f64 v[62:63], v[58:59], v[243:244]
	s_waitcnt vmcnt(10)
	v_mul_f64 v[66:67], v[155:156], v[247:248]
	s_waitcnt vmcnt(9)
	v_mul_f64 v[235:236], v[44:45], v[131:132]
	v_add_u32_e32 v244, 0x800, v188
	v_mov_b32_e32 v243, v187
	v_add_u32_e32 v187, 0x2400, v188
	v_fma_f64 v[56:57], v[58:59], v[241:242], v[74:75]
	v_mul_f64 v[74:75], v[54:55], v[247:248]
	v_fma_f64 v[225:226], v[191:192], v[241:242], -v[62:63]
	v_fma_f64 v[58:59], v[54:55], v[245:246], v[66:67]
	global_load_dwordx4 v[52:55], v253, s[12:13] offset:752
	global_load_dwordx4 v[189:192], v253, s[12:13] offset:736
	s_waitcnt vmcnt(10)
	v_mul_f64 v[66:67], v[167:168], v[135:136]
	ds_read2_b64 v[213:216], v7 offset0:76 offset1:125
	s_waitcnt vmcnt(8)
	v_mul_f64 v[237:238], v[46:47], v[139:140]
	v_mov_b32_e32 v241, v6
	v_fma_f64 v[62:63], v[155:156], v[245:246], -v[74:75]
	v_mul_f64 v[74:75], v[50:51], v[135:136]
	s_waitcnt lgkmcnt(0)
	v_mul_f64 v[48:49], v[213:214], v[131:132]
	ds_read2_b64 v[153:156], v188 offset1:49
	v_fma_f64 v[66:67], v[50:51], v[133:134], v[66:67]
	v_mul_f64 v[50:51], v[215:216], v[139:140]
	v_fma_f64 v[139:140], v[213:214], v[129:130], -v[235:236]
	v_mov_b32_e32 v245, v172
	v_fma_f64 v[135:136], v[167:168], v[133:134], -v[74:75]
	ds_read2_b64 v[131:134], v200 offset0:54 offset1:103
	v_fma_f64 v[74:75], v[44:45], v[129:130], v[48:49]
	ds_read2_b64 v[165:168], v176 offset0:84 offset1:133
	v_fma_f64 v[48:49], v[46:47], v[137:138], v[50:51]
	v_fma_f64 v[50:51], v[215:216], v[137:138], -v[237:238]
	s_waitcnt lgkmcnt(1)
	v_mul_f64 v[129:130], v[131:132], v[151:152]
	v_mul_f64 v[213:214], v[133:134], v[127:128]
	;; [unrolled: 1-line block ×4, first 2 shown]
	s_waitcnt lgkmcnt(0)
	v_mul_f64 v[215:216], v[167:168], v[151:152]
	v_mul_f64 v[151:152], v[38:39], v[151:152]
	ds_read2_b64 v[44:47], v244 offset0:38 offset1:87
	v_fma_f64 v[235:236], v[40:41], v[149:150], v[129:130]
	v_fma_f64 v[213:214], v[42:43], v[125:126], v[213:214]
	ds_read2_b64 v[40:43], v244 offset0:136 offset1:185
	s_waitcnt vmcnt(6)
	v_mul_f64 v[129:130], v[165:166], v[179:180]
	v_fma_f64 v[137:138], v[131:132], v[149:150], -v[137:138]
	v_mul_f64 v[131:132], v[36:37], v[179:180]
	v_fma_f64 v[237:238], v[133:134], v[125:126], -v[127:128]
	s_waitcnt lgkmcnt(0)
	v_mul_f64 v[133:134], v[40:41], v[159:160]
	v_fma_f64 v[179:180], v[38:39], v[149:150], v[215:216]
	v_fma_f64 v[149:150], v[167:168], v[149:150], -v[151:152]
	v_mul_f64 v[167:168], v[34:35], v[231:232]
	v_fma_f64 v[36:37], v[36:37], v[177:178], v[129:130]
	v_mul_f64 v[151:152], v[42:43], v[231:232]
	v_fma_f64 v[38:39], v[165:166], v[177:178], -v[131:132]
	ds_read2_b64 v[129:132], v6 offset0:100 offset1:149
	v_mul_f64 v[165:166], v[46:47], v[159:160]
	v_mul_f64 v[177:178], v[2:3], v[159:160]
	;; [unrolled: 1-line block ×3, first 2 shown]
	v_fma_f64 v[215:216], v[32:33], v[157:158], v[133:134]
	s_waitcnt lgkmcnt(0)
	v_mul_f64 v[133:134], v[129:130], v[207:208]
	ds_read2_b64 v[125:128], v4 offset0:130 offset1:179
	v_fma_f64 v[167:168], v[42:43], v[229:230], -v[167:168]
	v_mul_f64 v[42:43], v[131:132], v[143:144]
	v_mul_f64 v[143:144], v[30:31], v[143:144]
	v_fma_f64 v[151:152], v[34:35], v[229:230], v[151:152]
	ds_read2_b64 v[32:35], v187 offset0:122 offset1:171
	v_fma_f64 v[2:3], v[2:3], v[157:158], v[165:166]
	v_fma_f64 v[159:160], v[40:41], v[157:158], -v[159:160]
	v_fma_f64 v[46:47], v[46:47], v[157:158], -v[177:178]
	s_waitcnt lgkmcnt(1)
	v_mul_f64 v[157:158], v[127:128], v[207:208]
	v_fma_f64 v[165:166], v[28:29], v[205:206], v[133:134]
	v_mul_f64 v[28:29], v[28:29], v[207:208]
	v_fma_f64 v[177:178], v[30:31], v[141:142], v[42:43]
	v_mul_f64 v[30:31], v[18:19], v[207:208]
	v_fma_f64 v[141:142], v[131:132], v[141:142], -v[143:144]
	s_waitcnt vmcnt(5) lgkmcnt(0)
	v_mul_f64 v[131:132], v[32:33], v[203:204]
	ds_read2_b64 v[40:43], v5 offset0:168 offset1:217
	v_mul_f64 v[133:134], v[24:25], v[203:204]
	v_fma_f64 v[143:144], v[18:19], v[205:206], v[157:158]
	v_fma_f64 v[157:158], v[129:130], v[205:206], -v[28:29]
	s_waitcnt vmcnt(3)
	v_mul_f64 v[18:19], v[34:35], v[211:212]
	v_mul_f64 v[28:29], v[26:27], v[211:212]
	v_fma_f64 v[203:204], v[127:128], v[205:206], -v[30:31]
	v_fma_f64 v[205:206], v[24:25], v[201:202], v[131:132]
	s_waitcnt vmcnt(2) lgkmcnt(0)
	v_mul_f64 v[24:25], v[40:41], v[147:148]
	v_fma_f64 v[201:202], v[32:33], v[201:202], -v[133:134]
	v_mul_f64 v[30:31], v[20:21], v[147:148]
	v_mul_f64 v[32:33], v[16:17], v[185:186]
	v_fma_f64 v[18:19], v[26:27], v[209:210], v[18:19]
	v_fma_f64 v[28:29], v[34:35], v[209:210], -v[28:29]
	v_mul_f64 v[26:27], v[125:126], v[185:186]
	ds_read2_b64 v[127:130], v188 offset0:98 offset1:147
	s_waitcnt vmcnt(0)
	v_mul_f64 v[34:35], v[42:43], v[191:192]
	v_mul_f64 v[147:148], v[22:23], v[191:192]
	v_fma_f64 v[185:186], v[20:21], v[145:146], v[24:25]
	ds_read_b64 v[24:25], v188 offset:18816
	v_fma_f64 v[145:146], v[40:41], v[145:146], -v[30:31]
	v_fma_f64 v[30:31], v[125:126], v[183:184], -v[32:33]
	v_fma_f64 v[20:21], v[16:17], v[183:184], v[26:27]
	v_mul_f64 v[26:27], v[84:85], v[54:55]
	v_fma_f64 v[34:35], v[22:23], v[189:190], v[34:35]
	v_fma_f64 v[40:41], v[42:43], v[189:190], -v[147:148]
	s_waitcnt lgkmcnt(0)
	v_mul_f64 v[22:23], v[24:25], v[54:55]
	v_add_f64 v[16:17], v[2:3], v[170:171]
	v_add_f64 v[32:33], v[46:47], v[161:162]
	v_add_f64 v[42:43], v[46:47], -v[161:162]
	v_add_f64 v[46:47], v[94:95], v[143:144]
	v_add_f64 v[54:55], v[98:99], v[203:204]
	v_add_f64 v[2:3], v[2:3], -v[170:171]
	v_add_f64 v[94:95], v[94:95], -v[143:144]
	;; [unrolled: 1-line block ×3, first 2 shown]
	v_add_f64 v[125:126], v[179:180], v[92:93]
	v_add_f64 v[143:144], v[149:150], v[122:123]
	v_add_f64 v[92:93], v[92:93], -v[179:180]
	v_add_f64 v[122:123], v[122:123], -v[149:150]
	v_add_f64 v[147:148], v[46:47], v[16:17]
	v_add_f64 v[149:150], v[54:55], v[32:33]
	v_add_f64 v[161:162], v[46:47], -v[16:17]
	v_add_f64 v[169:170], v[54:55], -v[32:33]
	;; [unrolled: 1-line block ×6, first 2 shown]
	v_add_f64 v[16:17], v[92:93], v[94:95]
	v_add_f64 v[183:184], v[122:123], v[98:99]
	v_add_f64 v[189:190], v[92:93], -v[94:95]
	v_add_f64 v[191:192], v[122:123], -v[98:99]
	v_add_f64 v[125:126], v[125:126], v[147:148]
	v_add_f64 v[143:144], v[143:144], v[149:150]
	v_add_f64 v[94:95], v[94:95], -v[2:3]
	v_add_f64 v[98:99], v[98:99], -v[42:43]
	;; [unrolled: 1-line block ×4, first 2 shown]
	v_add_f64 v[147:148], v[16:17], v[2:3]
	v_add_f64 v[42:43], v[183:184], v[42:43]
	;; [unrolled: 1-line block ×4, first 2 shown]
	v_mul_f64 v[12:13], v[179:180], s[4:5]
	v_mul_f64 v[32:33], v[32:33], s[4:5]
	;; [unrolled: 1-line block ×8, first 2 shown]
	v_fma_f64 v[125:126], v[125:126], s[20:21], v[16:17]
	v_fma_f64 v[143:144], v[143:144], s[20:21], v[2:3]
	;; [unrolled: 1-line block ×4, first 2 shown]
	v_fma_f64 v[149:150], v[161:162], s[6:7], -v[149:150]
	v_fma_f64 v[153:154], v[169:170], s[6:7], -v[153:154]
	;; [unrolled: 1-line block ×4, first 2 shown]
	v_fma_f64 v[161:162], v[92:93], s[24:25], v[179:180]
	v_fma_f64 v[169:170], v[122:123], s[24:25], v[183:184]
	v_fma_f64 v[94:95], v[94:95], s[2:3], -v[179:180]
	v_fma_f64 v[92:93], v[92:93], s[22:23], -v[189:190]
	;; [unrolled: 1-line block ×4, first 2 shown]
	v_add_f64 v[179:180], v[46:47], v[125:126]
	v_add_f64 v[183:184], v[54:55], v[143:144]
	;; [unrolled: 1-line block ×6, first 2 shown]
	v_fma_f64 v[122:123], v[42:43], s[14:15], v[122:123]
	v_fma_f64 v[92:93], v[147:148], s[14:15], v[92:93]
	;; [unrolled: 1-line block ×6, first 2 shown]
	v_fma_f64 v[161:162], v[24:25], v[52:53], -v[26:27]
	v_add_f64 v[84:85], v[215:216], v[114:115]
	v_add_f64 v[32:33], v[122:123], v[125:126]
	v_add_f64 v[24:25], v[143:144], -v[92:93]
	v_add_f64 v[26:27], v[94:95], v[54:55]
	v_add_f64 v[52:53], v[54:55], -v[94:95]
	v_add_f64 v[122:123], v[125:126], -v[122:123]
	v_add_f64 v[54:55], v[92:93], v[143:144]
	v_add_f64 v[92:93], v[159:160], v[163:164]
	v_add_f64 v[94:95], v[215:216], -v[114:115]
	v_add_f64 v[114:115], v[110:111], v[165:166]
	v_add_f64 v[125:126], v[112:113], v[157:158]
	v_fma_f64 v[149:150], v[42:43], s[14:15], v[169:170]
	v_add_f64 v[42:43], v[46:47], -v[98:99]
	v_add_f64 v[46:47], v[98:99], v[46:47]
	v_add_f64 v[98:99], v[159:160], -v[163:164]
	v_add_f64 v[110:111], v[110:111], -v[165:166]
	v_add_f64 v[112:113], v[112:113], -v[157:158]
	v_add_f64 v[143:144], v[235:236], v[106:107]
	v_add_f64 v[157:158], v[137:138], v[108:109]
	v_add_f64 v[106:107], v[106:107], -v[235:236]
	v_add_f64 v[108:109], v[108:109], -v[137:138]
	v_add_f64 v[137:138], v[114:115], v[84:85]
	v_add_f64 v[159:160], v[125:126], v[92:93]
	v_add_f64 v[163:164], v[114:115], -v[84:85]
	v_add_f64 v[165:166], v[125:126], -v[92:93]
	v_add_f64 v[84:85], v[84:85], -v[143:144]
	v_add_f64 v[92:93], v[92:93], -v[157:158]
	v_add_f64 v[114:115], v[143:144], -v[114:115]
	v_add_f64 v[125:126], v[157:158], -v[125:126]
	v_add_f64 v[169:170], v[106:107], v[110:111]
	v_add_f64 v[189:190], v[108:109], v[112:113]
	v_add_f64 v[191:192], v[106:107], -v[110:111]
	v_add_f64 v[203:204], v[108:109], -v[112:113]
	v_add_f64 v[137:138], v[143:144], v[137:138]
	v_add_f64 v[143:144], v[157:158], v[159:160]
	v_add_f64 v[110:111], v[110:111], -v[94:95]
	v_add_f64 v[112:113], v[112:113], -v[98:99]
	;; [unrolled: 1-line block ×4, first 2 shown]
	v_add_f64 v[94:95], v[169:170], v[94:95]
	v_add_f64 v[98:99], v[189:190], v[98:99]
	;; [unrolled: 1-line block ×4, first 2 shown]
	v_mul_f64 v[84:85], v[84:85], s[4:5]
	v_mul_f64 v[92:93], v[92:93], s[4:5]
	;; [unrolled: 1-line block ×8, first 2 shown]
	v_fma_f64 v[137:138], v[137:138], s[20:21], v[157:158]
	v_fma_f64 v[143:144], v[143:144], s[20:21], v[14:15]
	;; [unrolled: 1-line block ×4, first 2 shown]
	v_fma_f64 v[155:156], v[163:164], s[6:7], -v[155:156]
	v_fma_f64 v[159:160], v[165:166], s[6:7], -v[159:160]
	;; [unrolled: 1-line block ×4, first 2 shown]
	v_fma_f64 v[163:164], v[106:107], s[24:25], v[169:170]
	v_fma_f64 v[165:166], v[108:109], s[24:25], v[189:190]
	v_fma_f64 v[110:111], v[110:111], s[2:3], -v[169:170]
	v_fma_f64 v[112:113], v[112:113], s[2:3], -v[189:190]
	;; [unrolled: 1-line block ×4, first 2 shown]
	v_add_f64 v[169:170], v[114:115], v[137:138]
	v_add_f64 v[125:126], v[125:126], v[143:144]
	;; [unrolled: 1-line block ×6, first 2 shown]
	v_fma_f64 v[106:107], v[94:95], s[14:15], v[106:107]
	v_fma_f64 v[108:109], v[98:99], s[14:15], v[108:109]
	;; [unrolled: 1-line block ×4, first 2 shown]
	v_add_f64 v[22:23], v[149:150], v[179:180]
	v_add_f64 v[12:13], v[183:184], -v[153:154]
	v_fma_f64 v[159:160], v[98:99], s[14:15], v[165:166]
	v_fma_f64 v[163:164], v[94:95], s[14:15], v[163:164]
	v_add_f64 v[149:150], v[179:180], -v[149:150]
	v_add_f64 v[84:85], v[153:154], v[183:184]
	v_add_f64 v[165:166], v[108:109], v[137:138]
	v_add_f64 v[94:95], v[143:144], -v[106:107]
	v_add_f64 v[179:180], v[114:115], -v[112:113]
	v_add_f64 v[98:99], v[110:111], v[155:156]
	v_add_f64 v[183:184], v[112:113], v[114:115]
	v_add_f64 v[112:113], v[155:156], -v[110:111]
	v_add_f64 v[108:109], v[137:138], -v[108:109]
	v_add_f64 v[114:115], v[106:107], v[143:144]
	v_add_f64 v[106:107], v[151:152], v[219:220]
	;; [unrolled: 1-line block ×3, first 2 shown]
	v_add_f64 v[137:138], v[151:152], -v[219:220]
	v_add_f64 v[143:144], v[173:174], v[177:178]
	v_add_f64 v[151:152], v[181:182], v[141:142]
	v_add_f64 v[116:117], v[167:168], -v[116:117]
	v_add_f64 v[155:156], v[173:174], -v[177:178]
	v_add_f64 v[141:142], v[181:182], -v[141:142]
	v_add_f64 v[167:168], v[213:214], v[193:194]
	v_add_f64 v[173:174], v[237:238], v[249:250]
	v_add_f64 v[177:178], v[193:194], -v[213:214]
	v_add_f64 v[181:182], v[249:250], -v[237:238]
	v_add_f64 v[189:190], v[143:144], v[106:107]
	v_add_f64 v[191:192], v[151:152], v[110:111]
	v_add_f64 v[193:194], v[143:144], -v[106:107]
	v_add_f64 v[203:204], v[151:152], -v[110:111]
	;; [unrolled: 1-line block ×6, first 2 shown]
	v_add_f64 v[207:208], v[177:178], v[155:156]
	v_add_f64 v[209:210], v[181:182], v[141:142]
	v_add_f64 v[211:212], v[177:178], -v[155:156]
	v_add_f64 v[213:214], v[181:182], -v[141:142]
	v_add_f64 v[167:168], v[167:168], v[189:190]
	v_add_f64 v[173:174], v[173:174], v[191:192]
	v_add_f64 v[155:156], v[155:156], -v[137:138]
	v_add_f64 v[141:142], v[141:142], -v[116:117]
	;; [unrolled: 1-line block ×4, first 2 shown]
	v_add_f64 v[137:138], v[207:208], v[137:138]
	v_add_f64 v[116:117], v[209:210], v[116:117]
	;; [unrolled: 1-line block ×4, first 2 shown]
	v_mul_f64 v[106:107], v[106:107], s[4:5]
	v_mul_f64 v[110:111], v[110:111], s[4:5]
	;; [unrolled: 1-line block ×8, first 2 shown]
	v_fma_f64 v[167:168], v[167:168], s[20:21], v[8:9]
	v_fma_f64 v[173:174], v[173:174], s[20:21], v[189:190]
	;; [unrolled: 1-line block ×4, first 2 shown]
	v_fma_f64 v[127:128], v[193:194], s[6:7], -v[127:128]
	v_fma_f64 v[191:192], v[203:204], s[6:7], -v[191:192]
	;; [unrolled: 1-line block ×4, first 2 shown]
	v_fma_f64 v[193:194], v[177:178], s[24:25], v[207:208]
	v_fma_f64 v[203:204], v[181:182], s[24:25], v[209:210]
	v_fma_f64 v[155:156], v[155:156], s[2:3], -v[207:208]
	v_fma_f64 v[141:142], v[141:142], s[2:3], -v[209:210]
	;; [unrolled: 1-line block ×4, first 2 shown]
	ds_read2_b64 v[131:134], v188 offset0:196 offset1:245
	v_mov_b32_e32 v171, v4
	v_add_f64 v[143:144], v[143:144], v[167:168]
	v_add_f64 v[151:152], v[151:152], v[173:174]
	;; [unrolled: 1-line block ×6, first 2 shown]
	v_fma_f64 v[167:168], v[116:117], s[14:15], v[203:204]
	v_fma_f64 v[173:174], v[137:138], s[14:15], v[193:194]
	;; [unrolled: 1-line block ×6, first 2 shown]
	buffer_load_dword v4, off, s[36:39], 0 offset:8 ; 4-byte Folded Reload
	buffer_load_dword v5, off, s[36:39], 0 offset:12 ; 4-byte Folded Reload
	;; [unrolled: 1-line block ×4, first 2 shown]
	v_add_f64 v[153:154], v[159:160], v[169:170]
	v_add_f64 v[92:93], v[125:126], -v[163:164]
	v_add_f64 v[141:142], v[169:170], -v[159:160]
	v_add_f64 v[155:156], v[163:164], v[125:126]
	v_add_f64 v[163:164], v[181:182], v[106:107]
	v_add_f64 v[169:170], v[110:111], -v[177:178]
	v_add_f64 v[193:194], v[127:128], -v[116:117]
	v_add_f64 v[203:204], v[137:138], v[191:192]
	;; [unrolled: 4-line block ×3, first 2 shown]
	v_add_f64 v[110:111], v[223:224], v[119:120]
	v_add_f64 v[127:128], v[86:87], v[217:218]
	;; [unrolled: 1-line block ×4, first 2 shown]
	v_add_f64 v[119:120], v[223:224], -v[119:120]
	v_add_f64 v[86:87], v[86:87], -v[217:218]
	v_add_f64 v[60:61], v[76:77], -v[60:61]
	v_add_f64 v[76:77], v[80:81], -v[78:79]
	v_add_f64 v[78:79], v[64:65], v[251:252]
	v_add_f64 v[80:81], v[72:73], v[254:255]
	v_add_f64 v[64:65], v[251:252], -v[64:65]
	v_add_f64 v[72:73], v[254:255], -v[72:73]
	v_add_f64 v[207:208], v[137:138], v[110:111]
	v_add_f64 v[209:210], v[181:182], v[127:128]
	v_add_f64 v[211:212], v[137:138], -v[110:111]
	v_add_f64 v[213:214], v[181:182], -v[127:128]
	;; [unrolled: 1-line block ×6, first 2 shown]
	v_add_f64 v[215:216], v[64:65], v[60:61]
	v_add_f64 v[217:218], v[72:73], v[76:77]
	v_add_f64 v[219:220], v[64:65], -v[60:61]
	v_add_f64 v[223:224], v[72:73], -v[76:77]
	v_add_f64 v[78:79], v[78:79], v[207:208]
	v_add_f64 v[80:81], v[80:81], v[209:210]
	v_add_f64 v[60:61], v[60:61], -v[119:120]
	v_add_f64 v[76:77], v[76:77], -v[86:87]
	;; [unrolled: 1-line block ×4, first 2 shown]
	v_add_f64 v[119:120], v[215:216], v[119:120]
	v_add_f64 v[86:87], v[217:218], v[86:87]
	;; [unrolled: 1-line block ×4, first 2 shown]
	v_mul_f64 v[110:111], v[110:111], s[4:5]
	v_mul_f64 v[127:128], v[127:128], s[4:5]
	;; [unrolled: 1-line block ×8, first 2 shown]
	v_fma_f64 v[78:79], v[78:79], s[20:21], v[10:11]
	v_fma_f64 v[80:81], v[80:81], s[20:21], v[207:208]
	;; [unrolled: 1-line block ×4, first 2 shown]
	v_fma_f64 v[129:130], v[211:212], s[6:7], -v[129:130]
	v_fma_f64 v[209:210], v[213:214], s[6:7], -v[209:210]
	;; [unrolled: 1-line block ×4, first 2 shown]
	v_fma_f64 v[211:212], v[64:65], s[24:25], v[215:216]
	v_fma_f64 v[213:214], v[72:73], s[24:25], v[217:218]
	v_fma_f64 v[60:61], v[60:61], s[2:3], -v[215:216]
	v_fma_f64 v[76:77], v[76:77], s[2:3], -v[217:218]
	;; [unrolled: 1-line block ×4, first 2 shown]
	v_add_f64 v[137:138], v[137:138], v[78:79]
	v_add_f64 v[181:182], v[181:182], v[80:81]
	;; [unrolled: 1-line block ×6, first 2 shown]
	v_fma_f64 v[64:65], v[119:120], s[14:15], v[64:65]
	v_fma_f64 v[72:73], v[86:87], s[14:15], v[72:73]
	;; [unrolled: 1-line block ×4, first 2 shown]
	v_add_f64 v[125:126], v[167:168], v[143:144]
	v_add_f64 v[159:160], v[151:152], -v[173:174]
	v_fma_f64 v[110:111], v[86:87], s[14:15], v[213:214]
	v_fma_f64 v[127:128], v[119:120], s[14:15], v[211:212]
	v_add_f64 v[86:87], v[143:144], -v[167:168]
	v_add_f64 v[151:152], v[173:174], v[151:152]
	v_add_f64 v[143:144], v[72:73], v[78:79]
	v_add_f64 v[173:174], v[80:81], -v[64:65]
	v_add_f64 v[211:212], v[129:130], -v[76:77]
	v_add_f64 v[213:214], v[60:61], v[209:210]
	v_add_f64 v[76:77], v[76:77], v[129:130]
	v_add_f64 v[60:61], v[209:210], -v[60:61]
	v_add_f64 v[72:73], v[78:79], -v[72:73]
	v_add_f64 v[209:210], v[64:65], v[80:81]
	v_add_f64 v[64:65], v[68:69], v[227:228]
	v_add_f64 v[78:79], v[70:71], v[233:234]
	v_add_f64 v[80:81], v[221:222], v[100:101]
	v_add_f64 v[129:130], v[88:89], v[102:103]
	v_add_f64 v[68:69], v[68:69], -v[227:228]
	v_add_f64 v[70:71], v[70:71], -v[233:234]
	;; [unrolled: 1-line block ×4, first 2 shown]
	v_add_f64 v[102:103], v[82:83], v[96:97]
	v_add_f64 v[215:216], v[90:91], v[104:105]
	v_add_f64 v[82:83], v[96:97], -v[82:83]
	v_add_f64 v[90:91], v[104:105], -v[90:91]
	v_add_f64 v[96:97], v[80:81], v[64:65]
	v_add_f64 v[104:105], v[129:130], v[78:79]
	v_add_f64 v[217:218], v[80:81], -v[64:65]
	v_add_f64 v[219:220], v[129:130], -v[78:79]
	;; [unrolled: 1-line block ×6, first 2 shown]
	v_add_f64 v[221:222], v[82:83], v[100:101]
	v_add_f64 v[223:224], v[90:91], v[88:89]
	v_add_f64 v[227:228], v[82:83], -v[100:101]
	v_add_f64 v[229:230], v[90:91], -v[88:89]
	v_add_f64 v[96:97], v[102:103], v[96:97]
	v_add_f64 v[102:103], v[215:216], v[104:105]
	v_add_f64 v[100:101], v[100:101], -v[68:69]
	v_add_f64 v[88:89], v[88:89], -v[70:71]
	;; [unrolled: 1-line block ×4, first 2 shown]
	v_add_f64 v[68:69], v[221:222], v[68:69]
	v_add_f64 v[70:71], v[223:224], v[70:71]
	s_waitcnt vmcnt(2)
	v_add_f64 v[4:5], v[4:5], v[96:97]
	s_waitcnt lgkmcnt(0)
	v_add_f64 v[215:216], v[131:132], v[102:103]
	v_mul_f64 v[64:65], v[64:65], s[4:5]
	v_mul_f64 v[78:79], v[78:79], s[4:5]
	v_mul_f64 v[104:105], v[80:81], s[16:17]
	v_mul_f64 v[131:132], v[129:130], s[16:17]
	v_mul_f64 v[221:222], v[227:228], s[18:19]
	v_mul_f64 v[223:224], v[229:230], s[18:19]
	v_mul_f64 v[227:228], v[100:101], s[2:3]
	v_mul_f64 v[229:230], v[88:89], s[2:3]
	v_fma_f64 v[96:97], v[96:97], s[20:21], v[4:5]
	v_fma_f64 v[102:103], v[102:103], s[20:21], v[215:216]
	;; [unrolled: 1-line block ×4, first 2 shown]
	v_fma_f64 v[104:105], v[217:218], s[6:7], -v[104:105]
	v_fma_f64 v[131:132], v[219:220], s[6:7], -v[131:132]
	;; [unrolled: 1-line block ×4, first 2 shown]
	v_fma_f64 v[217:218], v[82:83], s[24:25], v[221:222]
	v_fma_f64 v[219:220], v[90:91], s[24:25], v[223:224]
	v_fma_f64 v[100:101], v[100:101], s[2:3], -v[221:222]
	v_fma_f64 v[82:83], v[82:83], s[22:23], -v[227:228]
	v_fma_f64 v[90:91], v[90:91], s[22:23], -v[229:230]
	v_fma_f64 v[88:89], v[88:89], s[2:3], -v[223:224]
	v_add_f64 v[129:130], v[129:130], v[102:103]
	v_add_f64 v[131:132], v[131:132], v[102:103]
	;; [unrolled: 1-line block ×4, first 2 shown]
	v_fma_f64 v[102:103], v[68:69], s[14:15], v[217:218]
	v_fma_f64 v[82:83], v[68:69], s[14:15], v[82:83]
	;; [unrolled: 1-line block ×4, first 2 shown]
	v_add_f64 v[119:120], v[110:111], v[137:138]
	v_add_f64 v[80:81], v[80:81], v[96:97]
	;; [unrolled: 1-line block ×3, first 2 shown]
	v_fma_f64 v[96:97], v[70:71], s[14:15], v[219:220]
	v_fma_f64 v[70:71], v[70:71], s[14:15], v[88:89]
	v_add_f64 v[88:89], v[137:138], -v[110:111]
	v_add_f64 v[110:111], v[90:91], v[64:65]
	v_add_f64 v[219:220], v[78:79], -v[82:83]
	v_add_f64 v[221:222], v[68:69], v[131:132]
	v_add_f64 v[223:224], v[131:132], -v[68:69]
	v_add_f64 v[64:65], v[64:65], -v[90:91]
	v_add_f64 v[227:228], v[82:83], v[78:79]
	v_add_f64 v[68:69], v[74:75], v[66:67]
	;; [unrolled: 1-line block ×5, first 2 shown]
	v_add_f64 v[167:168], v[181:182], -v[127:128]
	v_add_f64 v[181:182], v[127:128], v[181:182]
	v_add_f64 v[127:128], v[104:105], -v[70:71]
	v_add_f64 v[70:71], v[70:71], v[104:105]
	v_add_f64 v[66:67], v[74:75], -v[66:67]
	v_add_f64 v[74:75], v[139:140], -v[135:136]
	;; [unrolled: 1-line block ×4, first 2 shown]
	v_add_f64 v[131:132], v[205:206], v[58:59]
	v_add_f64 v[135:136], v[201:202], v[62:63]
	v_add_f64 v[58:59], v[58:59], -v[205:206]
	v_add_f64 v[62:63], v[62:63], -v[201:202]
	v_add_f64 v[137:138], v[82:83], v[68:69]
	v_add_f64 v[139:140], v[90:91], v[78:79]
	s_waitcnt lgkmcnt(0)
	; wave barrier
	ds_write2_b64 v188, v[16:17], v[22:23] offset1:49
	ds_write2_b64 v188, v[32:33], v[42:43] offset0:98 offset1:147
	ds_write2_b64 v188, v[46:47], v[122:123] offset0:196 offset1:245
	ds_write2_b64 v244, v[149:150], v[157:158] offset0:38 offset1:87
	ds_write2_b64 v244, v[153:154], v[165:166] offset0:136 offset1:185
	ds_write2_b64 v118, v[179:180], v[183:184] offset0:106 offset1:155
	ds_write2_b64 v240, v[108:109], v[141:142] offset0:76 offset1:125
	v_add_f64 v[145:146], v[82:83], -v[68:69]
	v_add_f64 v[185:186], v[90:91], -v[78:79]
	;; [unrolled: 1-line block ×6, first 2 shown]
	v_add_f64 v[201:202], v[58:59], v[56:57]
	v_add_f64 v[205:206], v[62:63], v[104:105]
	v_add_f64 v[225:226], v[58:59], -v[56:57]
	v_add_f64 v[229:230], v[62:63], -v[104:105]
	v_add_f64 v[131:132], v[131:132], v[137:138]
	v_add_f64 v[135:136], v[135:136], v[139:140]
	v_add_f64 v[56:57], v[56:57], -v[66:67]
	v_add_f64 v[104:105], v[104:105], -v[74:75]
	buffer_load_dword v16, off, s[36:39], 0 offset:4 ; 4-byte Folded Reload
	v_add_f64 v[58:59], v[66:67], -v[58:59]
	v_add_f64 v[62:63], v[74:75], -v[62:63]
	v_add_f64 v[66:67], v[201:202], v[66:67]
	v_add_f64 v[74:75], v[205:206], v[74:75]
	s_waitcnt vmcnt(1)
	v_add_f64 v[6:7], v[6:7], v[131:132]
	v_add_f64 v[201:202], v[133:134], v[135:136]
	v_mul_f64 v[68:69], v[68:69], s[4:5]
	v_mul_f64 v[78:79], v[78:79], s[4:5]
	;; [unrolled: 1-line block ×8, first 2 shown]
	v_fma_f64 v[131:132], v[131:132], s[20:21], v[6:7]
	v_fma_f64 v[135:136], v[135:136], s[20:21], v[201:202]
	;; [unrolled: 1-line block ×4, first 2 shown]
	v_fma_f64 v[133:134], v[145:146], s[6:7], -v[133:134]
	v_fma_f64 v[137:138], v[185:186], s[6:7], -v[137:138]
	;; [unrolled: 1-line block ×4, first 2 shown]
	v_fma_f64 v[145:146], v[58:59], s[24:25], v[139:140]
	v_fma_f64 v[185:186], v[62:63], s[24:25], v[205:206]
	v_fma_f64 v[104:105], v[104:105], s[2:3], -v[205:206]
	v_fma_f64 v[58:59], v[58:59], s[22:23], -v[225:226]
	;; [unrolled: 1-line block ×3, first 2 shown]
	v_add_f64 v[82:83], v[82:83], v[131:132]
	v_add_f64 v[133:134], v[133:134], v[131:132]
	;; [unrolled: 1-line block ×4, first 2 shown]
	v_fma_f64 v[131:132], v[74:75], s[14:15], v[185:186]
	v_fma_f64 v[56:57], v[56:57], s[2:3], -v[139:140]
	v_fma_f64 v[58:59], v[66:67], s[14:15], v[58:59]
	v_fma_f64 v[62:63], v[74:75], s[14:15], v[62:63]
	;; [unrolled: 1-line block ×3, first 2 shown]
	v_add_f64 v[100:101], v[96:97], v[80:81]
	v_add_f64 v[217:218], v[129:130], -v[102:103]
	v_add_f64 v[90:91], v[90:91], v[135:136]
	v_add_f64 v[137:138], v[137:138], v[135:136]
	v_fma_f64 v[135:136], v[66:67], s[14:15], v[145:146]
	v_add_f64 v[205:206], v[78:79], -v[58:59]
	v_add_f64 v[58:59], v[58:59], v[78:79]
	v_add_f64 v[104:105], v[133:134], -v[74:75]
	v_add_f64 v[74:75], v[74:75], v[133:134]
	v_add_f64 v[78:79], v[50:51], v[161:162]
	v_add_f64 v[133:134], v[38:39], v[40:41]
	v_fma_f64 v[56:57], v[66:67], s[14:15], v[56:57]
	v_add_f64 v[66:67], v[80:81], -v[96:97]
	v_add_f64 v[96:97], v[102:103], v[129:130]
	v_add_f64 v[102:103], v[62:63], v[68:69]
	v_add_f64 v[62:63], v[68:69], -v[62:63]
	v_add_f64 v[68:69], v[48:49], v[147:148]
	v_add_f64 v[129:130], v[36:37], v[34:35]
	v_add_f64 v[34:35], v[36:37], -v[34:35]
	v_add_f64 v[36:37], v[38:39], -v[40:41]
	v_add_f64 v[38:39], v[18:19], v[20:21]
	v_add_f64 v[40:41], v[28:29], v[30:31]
	v_add_f64 v[18:19], v[20:21], -v[18:19]
	;; [unrolled: 4-line block ×3, first 2 shown]
	v_add_f64 v[48:49], v[48:49], -v[147:148]
	v_add_f64 v[50:51], v[50:51], -v[161:162]
	v_add_f64 v[28:29], v[129:130], v[68:69]
	v_add_f64 v[137:138], v[129:130], -v[68:69]
	v_add_f64 v[139:140], v[133:134], -v[78:79]
	;; [unrolled: 1-line block ×6, first 2 shown]
	v_add_f64 v[145:146], v[18:19], v[34:35]
	v_add_f64 v[147:148], v[20:21], v[36:37]
	v_add_f64 v[161:162], v[18:19], -v[34:35]
	v_add_f64 v[30:31], v[40:41], v[30:31]
	v_add_f64 v[229:230], v[20:21], -v[36:37]
	;; [unrolled: 2-line block ×3, first 2 shown]
	v_add_f64 v[20:21], v[50:51], -v[20:21]
	v_add_f64 v[34:35], v[34:35], -v[48:49]
	;; [unrolled: 1-line block ×3, first 2 shown]
	v_add_f64 v[38:39], v[145:146], v[48:49]
	v_add_f64 v[40:41], v[147:148], v[50:51]
	;; [unrolled: 1-line block ×3, first 2 shown]
	v_mul_f64 v[44:45], v[68:69], s[4:5]
	v_mul_f64 v[50:51], v[78:79], s[4:5]
	;; [unrolled: 1-line block ×7, first 2 shown]
	v_fma_f64 v[30:31], v[30:31], s[20:21], v[48:49]
	v_fma_f64 v[129:130], v[129:130], s[16:17], v[44:45]
	;; [unrolled: 1-line block ×3, first 2 shown]
	v_fma_f64 v[68:69], v[137:138], s[6:7], -v[68:69]
	v_fma_f64 v[78:79], v[139:140], s[6:7], -v[78:79]
	v_fma_f64 v[44:45], v[137:138], s[8:9], -v[44:45]
	v_fma_f64 v[50:51], v[139:140], s[8:9], -v[50:51]
	v_fma_f64 v[137:138], v[18:19], s[24:25], v[145:146]
	v_mul_f64 v[161:162], v[34:35], s[2:3]
	v_fma_f64 v[139:140], v[20:21], s[24:25], v[147:148]
	v_add_f64 v[133:134], v[133:134], v[30:31]
	v_fma_f64 v[20:21], v[20:21], s[22:23], -v[229:230]
	v_add_f64 v[78:79], v[78:79], v[30:31]
	v_add_f64 v[185:186], v[90:91], -v[135:136]
	v_add_f64 v[30:31], v[50:51], v[30:31]
	v_fma_f64 v[50:51], v[38:39], s[14:15], v[137:138]
	v_fma_f64 v[18:19], v[18:19], s[22:23], -v[161:162]
	v_add_f64 v[161:162], v[135:136], v[90:91]
	v_add_f64 v[0:1], v[0:1], v[28:29]
	v_fma_f64 v[36:37], v[36:37], s[2:3], -v[147:148]
	v_fma_f64 v[34:35], v[34:35], s[2:3], -v[145:146]
	v_fma_f64 v[20:21], v[40:41], s[14:15], v[20:21]
	v_add_f64 v[80:81], v[131:132], v[82:83]
	v_add_f64 v[229:230], v[133:134], -v[50:51]
	v_add_f64 v[50:51], v[50:51], v[133:134]
	s_waitcnt vmcnt(0)
	v_lshl_add_u32 v134, v16, 3, 0
	v_add_u32_e32 v135, 0x1000, v134
	ds_write2_b64 v135, v[8:9], v[125:126] offset0:174 offset1:223
	v_add_u32_e32 v125, 0x1800, v134
	ds_write2_b64 v125, v[163:164], v[193:194] offset0:16 offset1:65
	ds_write2_b64 v125, v[116:117], v[106:107] offset0:114 offset1:163
	ds_write_b64 v134, v[86:87] offset:7840
	buffer_load_dword v8, off, s[36:39], 0 offset:24 ; 4-byte Folded Reload
	v_fma_f64 v[28:29], v[28:29], s[20:21], v[0:1]
	v_fma_f64 v[36:37], v[40:41], s[14:15], v[36:37]
	;; [unrolled: 1-line block ×4, first 2 shown]
	v_add_f64 v[38:39], v[82:83], -v[131:132]
	v_mov_b32_e32 v154, v187
	v_mov_b32_e32 v153, v176
	;; [unrolled: 1-line block ×3, first 2 shown]
	v_add_f64 v[129:130], v[129:130], v[28:29]
	v_add_f64 v[68:69], v[68:69], v[28:29]
	;; [unrolled: 1-line block ×3, first 2 shown]
	v_fma_f64 v[44:45], v[40:41], s[14:15], v[139:140]
	v_add_f64 v[231:232], v[30:31], -v[18:19]
	v_add_f64 v[237:238], v[18:19], v[30:31]
	v_add_f64 v[233:234], v[34:35], v[78:79]
	v_add_f64 v[235:236], v[78:79], -v[34:35]
	v_mov_b32_e32 v117, v118
	v_add_f64 v[90:91], v[68:69], -v[36:37]
	v_add_f64 v[82:83], v[20:21], v[28:29]
	v_add_f64 v[40:41], v[44:45], v[129:130]
	;; [unrolled: 1-line block ×3, first 2 shown]
	v_add_f64 v[20:21], v[28:29], -v[20:21]
	v_add_f64 v[18:19], v[129:130], -v[44:45]
	s_waitcnt vmcnt(0)
	v_lshl_add_u32 v86, v8, 3, 0
	v_add_u32_e32 v87, 0x2000, v86
	ds_write2_b64 v87, v[10:11], v[119:120] offset0:5 offset1:54
	ds_write2_b64 v87, v[143:144], v[211:212] offset0:103 offset1:152
	;; [unrolled: 1-line block ×3, first 2 shown]
	ds_write_b64 v86, v[88:89] offset:10584
	buffer_load_dword v8, off, s[36:39], 0 offset:28 ; 4-byte Folded Reload
	s_waitcnt vmcnt(0)
	v_lshl_add_u32 v148, v8, 3, 0
	v_add_u32_e32 v149, 0x2800, v148
	ds_write2_b64 v149, v[4:5], v[100:101] offset0:92 offset1:141
	ds_write2_b64 v149, v[110:111], v[127:128] offset0:190 offset1:239
	v_lshl_add_u32 v5, v175, 3, 0
	v_add_u32_e32 v4, 0x3000, v148
	v_add_u32_e32 v150, 0x3000, v5
	ds_write2_b64 v4, v[70:71], v[64:65] offset0:32 offset1:81
	ds_write_b64 v148, v[66:67] offset:13328
	ds_write2_b64 v150, v[6:7], v[80:81] offset0:179 offset1:228
	v_add_u32_e32 v6, 0x3800, v5
	v_lshl_add_u32 v7, v121, 3, 0
	ds_write2_b64 v6, v[102:103], v[104:105] offset0:21 offset1:70
	ds_write2_b64 v6, v[74:75], v[62:63] offset0:119 offset1:168
	ds_write_b64 v5, v[38:39] offset:16072
	v_add_u32_e32 v62, 0x4000, v7
	ds_write2_b64 v62, v[0:1], v[40:41] offset0:10 offset1:59
	ds_write2_b64 v62, v[82:83], v[90:91] offset0:108 offset1:157
	;; [unrolled: 1-line block ×3, first 2 shown]
	ds_write_b64 v7, v[18:19] offset:18816
	s_waitcnt lgkmcnt(0)
	; wave barrier
	s_waitcnt lgkmcnt(0)
	ds_read2_b64 v[28:31], v188 offset1:49
	ds_read2_b64 v[32:35], v244 offset0:38 offset1:87
	ds_read2_b64 v[64:67], v240 offset0:174 offset1:223
	ds_read2_b64 v[44:47], v176 offset0:84 offset1:133
	ds_read2_b64 v[36:39], v243 offset0:92 offset1:141
	ds_read2_b64 v[68:71], v171 offset0:130 offset1:179
	ds_read2_b64 v[40:43], v172 offset0:10 offset1:59
	ds_read2_b64 v[104:107], v244 offset0:136 offset1:185
	ds_read2_b64 v[80:83], v200 offset0:54 offset1:103
	ds_read2_b64 v[88:91], v241 offset0:100 offset1:149
	ds_read2_b64 v[246:249], v188 offset0:98 offset1:147
	ds_read2_b64 v[126:129], v195 offset0:16 offset1:65
	ds_read2_b64 v[120:123], v243 offset0:190 offset1:239
	ds_read2_b64 v[136:139], v172 offset0:108 offset1:157
	ds_read2_b64 v[144:147], v118 offset0:106 offset1:155
	ds_read2_b64 v[130:133], v200 offset0:152 offset1:201
	ds_read2_b64 v[140:143], v239 offset0:70 offset1:119
	ds_read2_b64 v[100:103], v188 offset0:196 offset1:245
	ds_read2_b64 v[108:111], v195 offset0:114 offset1:163
	ds_read2_b64 v[76:79], v171 offset0:32 offset1:81
	ds_read2_b64 v[72:75], v172 offset0:206 offset1:255
	ds_read2_b64 v[8:11], v240 offset0:76 offset1:125
	ds_read2_b64 v[16:19], v187 offset0:122 offset1:171
	ds_read2_b64 v[20:23], v239 offset0:168 offset1:217
	ds_read_b64 v[0:1], v188 offset:18816
	v_mov_b32_e32 v243, v240
	s_waitcnt lgkmcnt(0)
	; wave barrier
	s_waitcnt lgkmcnt(0)
	ds_write2_b64 v188, v[2:3], v[12:13] offset1:49
	ds_write2_b64 v188, v[24:25], v[26:27] offset0:98 offset1:147
	ds_write2_b64 v188, v[52:53], v[54:55] offset0:196 offset1:245
	;; [unrolled: 1-line block ×9, first 2 shown]
	ds_write_b64 v134, v[151:152] offset:7840
	ds_write2_b64 v87, v[207:208], v[167:168] offset0:5 offset1:54
	ds_write2_b64 v87, v[173:174], v[213:214] offset0:103 offset1:152
	ds_write2_b64 v87, v[60:61], v[209:210] offset0:201 offset1:250
	ds_write_b64 v86, v[181:182] offset:10584
	ds_write2_b64 v149, v[215:216], v[217:218] offset0:92 offset1:141
	ds_write2_b64 v149, v[219:220], v[221:222] offset0:190 offset1:239
	ds_write2_b64 v4, v[223:224], v[227:228] offset0:32 offset1:81
	;; [unrolled: 4-line block ×4, first 2 shown]
	ds_write_b64 v7, v[50:51] offset:18816
	s_waitcnt lgkmcnt(0)
	; wave barrier
	s_waitcnt lgkmcnt(0)
	s_and_saveexec_b64 s[34:35], s[0:1]
	s_cbranch_execz .LBB0_15
; %bb.14:
	buffer_load_dword v242, off, s[36:39], 0 ; 4-byte Folded Reload
	v_mov_b32_e32 v156, s13
	s_movk_i32 s1, 0x1540
	s_movk_i32 s0, 0x1500
	v_mov_b32_e32 v125, 0xfffffeda
	v_mov_b32_e32 v187, 0
	;; [unrolled: 1-line block ×3, first 2 shown]
	s_waitcnt vmcnt(0)
	v_mul_u32_u24_e32 v2, 6, v242
	v_lshlrev_b32_e32 v2, 4, v2
	v_add_co_u32_e32 v48, vcc, s12, v2
	v_addc_co_u32_e32 v49, vcc, 0, v156, vcc
	v_add_co_u32_e32 v6, vcc, s28, v48
	v_addc_co_u32_e32 v7, vcc, 0, v49, vcc
	;; [unrolled: 2-line block ×3, first 2 shown]
	global_load_dwordx4 v[2:5], v[6:7], off offset:1280
	global_load_dwordx4 v[12:15], v[6:7], off offset:1344
	s_nop 0
	global_load_dwordx4 v[24:27], v[24:25], off offset:16
	v_add_co_u32_e32 v6, vcc, s0, v48
	v_addc_co_u32_e32 v7, vcc, 0, v49, vcc
	global_load_dwordx4 v[48:51], v[6:7], off offset:48
	global_load_dwordx4 v[52:55], v[6:7], off offset:32
	;; [unrolled: 1-line block ×3, first 2 shown]
	v_mad_u32_u24 v186, v242, 6, v125
	v_lshlrev_b64 v[134:135], 4, v[186:187]
	ds_read2_b64 v[60:63], v243 offset0:76 offset1:125
	ds_read_b64 v[6:7], v188 offset:18816
	ds_read2_b64 v[96:99], v171 offset0:130 offset1:179
	ds_read2_b64 v[112:115], v154 offset0:122 offset1:171
	;; [unrolled: 1-line block ×5, first 2 shown]
	v_add_co_u32_e32 v125, vcc, s12, v134
	v_addc_co_u32_e32 v152, vcc, v156, v135, vcc
	v_add_co_u32_e32 v134, vcc, s0, v125
	v_addc_co_u32_e32 v135, vcc, 0, v152, vcc
	;; [unrolled: 2-line block ×4, first 2 shown]
	global_load_dwordx4 v[152:155], v[161:162], off offset:1280
	global_load_dwordx4 v[157:160], v[134:135], off offset:48
	;; [unrolled: 1-line block ×6, first 2 shown]
	ds_read2_b64 v[201:204], v245 offset0:206 offset1:255
	ds_read2_b64 v[205:208], v171 offset0:32 offset1:81
	ds_read2_b64 v[209:212], v195 offset0:114 offset1:163
	s_waitcnt vmcnt(11) lgkmcnt(9)
	v_mul_f64 v[134:135], v[4:5], v[62:63]
	s_waitcnt vmcnt(9) lgkmcnt(8)
	v_mul_f64 v[161:162], v[26:27], v[6:7]
	s_waitcnt lgkmcnt(4)
	v_mul_f64 v[163:164], v[14:15], v[150:151]
	v_mul_f64 v[26:27], v[0:1], v[26:27]
	;; [unrolled: 1-line block ×4, first 2 shown]
	s_waitcnt vmcnt(8)
	v_mul_f64 v[169:170], v[50:51], v[96:97]
	s_waitcnt vmcnt(7)
	v_mul_f64 v[173:174], v[54:55], v[114:115]
	;; [unrolled: 2-line block ×3, first 2 shown]
	v_mul_f64 v[58:59], v[44:45], v[58:59]
	v_mul_f64 v[54:55], v[18:19], v[54:55]
	;; [unrolled: 1-line block ×3, first 2 shown]
	v_fma_f64 v[10:11], v[10:11], v[2:3], v[134:135]
	v_fma_f64 v[0:1], v[0:1], v[24:25], v[161:162]
	;; [unrolled: 1-line block ×3, first 2 shown]
	v_fma_f64 v[6:7], v[24:25], v[6:7], -v[26:27]
	v_fma_f64 v[2:3], v[2:3], v[62:63], -v[4:5]
	;; [unrolled: 1-line block ×3, first 2 shown]
	v_fma_f64 v[12:13], v[68:69], v[48:49], v[169:170]
	v_fma_f64 v[14:15], v[18:19], v[52:53], v[173:174]
	;; [unrolled: 1-line block ×3, first 2 shown]
	v_fma_f64 v[24:25], v[56:57], v[84:85], -v[58:59]
	v_fma_f64 v[26:27], v[52:53], v[114:115], -v[54:55]
	;; [unrolled: 1-line block ×3, first 2 shown]
	v_add_f64 v[48:49], v[10:11], -v[0:1]
	v_add_f64 v[50:51], v[2:3], v[6:7]
	v_add_f64 v[0:1], v[10:11], v[0:1]
	v_add_f64 v[2:3], v[2:3], -v[6:7]
	v_add_f64 v[6:7], v[12:13], -v[14:15]
	;; [unrolled: 1-line block ×3, first 2 shown]
	v_add_f64 v[52:53], v[24:25], v[4:5]
	v_add_f64 v[54:55], v[44:45], v[26:27]
	;; [unrolled: 1-line block ×4, first 2 shown]
	v_add_f64 v[14:15], v[44:45], -v[26:27]
	v_add_f64 v[4:5], v[24:25], -v[4:5]
	;; [unrolled: 1-line block ×4, first 2 shown]
	v_add_f64 v[26:27], v[50:51], v[52:53]
	v_add_f64 v[6:7], v[6:7], v[10:11]
	v_add_f64 v[44:45], v[50:51], -v[54:55]
	v_add_f64 v[56:57], v[54:55], -v[52:53]
	v_add_f64 v[58:59], v[0:1], v[18:19]
	v_add_f64 v[62:63], v[0:1], -v[12:13]
	v_add_f64 v[68:69], v[12:13], -v[18:19]
	;; [unrolled: 1-line block ×4, first 2 shown]
	v_add_f64 v[14:15], v[14:15], v[4:5]
	v_add_f64 v[10:11], v[10:11], -v[48:49]
	v_add_f64 v[0:1], v[18:19], -v[0:1]
	v_mul_f64 v[18:19], v[24:25], s[18:19]
	v_add_f64 v[24:25], v[54:55], v[26:27]
	v_add_f64 v[50:51], v[52:53], -v[50:51]
	v_add_f64 v[4:5], v[4:5], -v[2:3]
	v_add_f64 v[6:7], v[48:49], v[6:7]
	v_mul_f64 v[26:27], v[44:45], s[4:5]
	v_add_f64 v[48:49], v[12:13], v[58:59]
	v_mul_f64 v[52:53], v[56:57], s[16:17]
	v_mul_f64 v[56:57], v[68:69], s[16:17]
	v_add_f64 v[68:69], v[2:3], v[14:15]
	v_mul_f64 v[2:3], v[10:11], s[2:3]
	s_waitcnt lgkmcnt(3)
	v_add_f64 v[14:15], v[92:93], v[24:25]
	v_mul_f64 v[54:55], v[62:63], s[4:5]
	v_mul_f64 v[58:59], v[96:97], s[18:19]
	v_add_f64 v[12:13], v[32:33], v[48:49]
	v_mul_f64 v[32:33], v[4:5], s[2:3]
	v_fma_f64 v[92:93], v[22:23], s[24:25], v[18:19]
	v_fma_f64 v[26:27], v[50:51], s[8:9], -v[26:27]
	v_fma_f64 v[2:3], v[22:23], s[22:23], -v[2:3]
	v_fma_f64 v[22:23], v[24:25], s[20:21], v[14:15]
	v_fma_f64 v[50:51], v[50:51], s[6:7], -v[52:53]
	v_fma_f64 v[62:63], v[62:63], s[4:5], v[56:57]
	v_fma_f64 v[96:97], v[84:85], s[24:25], v[58:59]
	;; [unrolled: 1-line block ×3, first 2 shown]
	v_fma_f64 v[48:49], v[0:1], s[8:9], -v[54:55]
	v_fma_f64 v[32:33], v[84:85], s[22:23], -v[32:33]
	;; [unrolled: 1-line block ×3, first 2 shown]
	v_fma_f64 v[44:45], v[44:45], s[4:5], v[52:53]
	v_add_f64 v[18:19], v[50:51], v[22:23]
	v_fma_f64 v[50:51], v[0:1], s[6:7], -v[56:57]
	v_fma_f64 v[56:57], v[4:5], s[2:3], -v[58:59]
	v_fma_f64 v[52:53], v[6:7], s[14:15], v[92:93]
	v_add_f64 v[54:55], v[62:63], v[24:25]
	v_fma_f64 v[62:63], v[68:69], s[14:15], v[96:97]
	v_add_f64 v[48:49], v[48:49], v[24:25]
	v_fma_f64 v[92:93], v[68:69], s[14:15], v[32:33]
	s_waitcnt vmcnt(3)
	v_mul_f64 v[96:97], v[167:168], v[112:113]
	v_add_f64 v[24:25], v[50:51], v[24:25]
	v_fma_f64 v[50:51], v[68:69], s[14:15], v[56:57]
	s_waitcnt lgkmcnt(1)
	v_mul_f64 v[68:69], v[159:160], v[207:208]
	s_waitcnt vmcnt(2) lgkmcnt(0)
	v_mul_f64 v[114:115], v[179:180], v[211:212]
	v_add_co_u32_e32 v32, vcc, s12, v124
	v_mul_f64 v[56:57], v[154:155], v[60:61]
	s_waitcnt vmcnt(1)
	v_mul_f64 v[124:125], v[185:186], v[148:149]
	s_waitcnt vmcnt(0)
	v_mul_f64 v[134:135], v[74:75], v[191:192]
	v_mul_f64 v[150:151], v[8:9], v[154:155]
	;; [unrolled: 1-line block ×4, first 2 shown]
	v_fma_f64 v[68:69], v[78:79], v[157:158], v[68:69]
	v_fma_f64 v[96:97], v[16:17], v[165:166], v[96:97]
	;; [unrolled: 1-line block ×3, first 2 shown]
	v_mul_f64 v[16:17], v[16:17], v[167:168]
	v_mul_f64 v[78:79], v[78:79], v[159:160]
	v_mov_b32_e32 v110, 0xfffffdb4
	v_mad_u32_u24 v186, v242, 6, v110
	v_lshlrev_b64 v[110:111], 4, v[186:187]
	v_addc_co_u32_e32 v33, vcc, 0, v156, vcc
	v_add_co_u32_e32 v171, vcc, s12, v110
	v_addc_co_u32_e32 v173, vcc, v156, v111, vcc
	v_add_co_u32_e32 v163, vcc, s0, v171
	v_addc_co_u32_e32 v164, vcc, 0, v173, vcc
	v_fma_f64 v[20:21], v[20:21], v[183:184], v[124:125]
	v_fma_f64 v[124:125], v[189:190], v[203:204], -v[134:135]
	v_fma_f64 v[134:135], v[183:184], v[148:149], -v[154:155]
	;; [unrolled: 1-line block ×5, first 2 shown]
	global_load_dwordx4 v[110:113], v[163:164], off offset:32
	global_load_dwordx4 v[157:160], v[163:164], off offset:16
	v_mul_f64 v[58:59], v[191:192], v[203:204]
	v_add_co_u32_e32 v169, vcc, s28, v171
	v_addc_co_u32_e32 v170, vcc, 0, v173, vcc
	global_load_dwordx4 v[165:168], v[169:170], off offset:1280
	global_load_dwordx4 v[175:178], v[163:164], off offset:48
	v_add_co_u32_e32 v163, vcc, s1, v171
	v_fma_f64 v[58:59], v[74:75], v[189:190], v[58:59]
	v_addc_co_u32_e32 v164, vcc, 0, v173, vcc
	global_load_dwordx4 v[183:186], v[169:170], off offset:1344
	global_load_dwordx4 v[189:192], v[163:164], off offset:16
	v_fma_f64 v[60:61], v[152:153], v[60:61], -v[150:151]
	v_add_f64 v[44:45], v[44:45], v[22:23]
	v_fma_f64 v[84:85], v[6:7], s[14:15], v[2:3]
	v_add_f64 v[26:27], v[26:27], v[22:23]
	v_fma_f64 v[22:23], v[6:7], s[14:15], v[10:11]
	v_fma_f64 v[56:57], v[8:9], v[152:153], v[56:57]
	v_add_f64 v[74:75], v[68:69], -v[96:97]
	v_add_f64 v[150:151], v[114:115], -v[20:21]
	v_add_f64 v[152:153], v[60:61], v[124:125]
	v_add_f64 v[154:155], v[148:149], v[134:135]
	;; [unrolled: 1-line block ×4, first 2 shown]
	v_add_f64 v[10:11], v[18:19], -v[22:23]
	v_add_f64 v[18:19], v[22:23], v[18:19]
	v_add_f64 v[16:17], v[24:25], -v[50:51]
	v_add_f64 v[22:23], v[26:27], -v[84:85]
	;; [unrolled: 1-line block ×3, first 2 shown]
	v_add_f64 v[26:27], v[152:153], v[154:155]
	v_add_f64 v[84:85], v[78:79], v[161:162]
	;; [unrolled: 1-line block ×5, first 2 shown]
	v_add_f64 v[0:1], v[54:55], -v[62:63]
	v_add_f64 v[4:5], v[48:49], -v[92:93]
	;; [unrolled: 1-line block ×3, first 2 shown]
	v_add_f64 v[20:21], v[92:93], v[48:49]
	v_add_f64 v[56:57], v[84:85], v[26:27]
	v_mul_f64 v[92:93], v[24:25], s[18:19]
	v_add_f64 v[26:27], v[44:45], -v[52:53]
	v_add_f64 v[24:25], v[62:63], v[54:55]
	v_add_f64 v[44:45], v[163:164], v[114:115]
	v_add_f64 v[52:53], v[68:69], v[96:97]
	v_add_f64 v[54:55], v[74:75], v[150:151]
	ds_read2_b64 v[211:214], v188 offset0:196 offset1:245
	v_add_f64 v[48:49], v[50:51], -v[74:75]
	v_add_f64 v[68:69], v[78:79], -v[161:162]
	;; [unrolled: 1-line block ×4, first 2 shown]
	s_waitcnt lgkmcnt(0)
	v_add_f64 v[58:59], v[213:214], v[56:57]
	v_add_f64 v[84:85], v[84:85], -v[154:155]
	v_add_f64 v[44:45], v[52:53], v[44:45]
	v_add_f64 v[54:55], v[50:51], v[54:55]
	v_add_f64 v[134:135], v[52:53], -v[114:115]
	v_add_f64 v[60:61], v[60:61], -v[124:125]
	;; [unrolled: 1-line block ×4, first 2 shown]
	v_fma_f64 v[96:97], v[56:57], s[20:21], v[58:59]
	v_mul_f64 v[84:85], v[84:85], s[16:17]
	v_add_f64 v[56:57], v[102:103], v[44:45]
	v_add_f64 v[52:53], v[163:164], -v[52:53]
	v_mul_f64 v[102:103], v[134:135], s[16:17]
	v_add_f64 v[134:135], v[60:61], -v[68:69]
	v_add_f64 v[68:69], v[68:69], v[74:75]
	v_add_f64 v[74:75], v[74:75], -v[60:61]
	v_mul_f64 v[150:151], v[50:51], s[2:3]
	v_fma_f64 v[62:63], v[48:49], s[24:25], v[92:93]
	v_mul_f64 v[148:149], v[78:79], s[4:5]
	v_mul_f64 v[124:125], v[124:125], s[18:19]
	v_fma_f64 v[78:79], v[78:79], s[4:5], v[84:85]
	v_mul_f64 v[161:162], v[52:53], s[4:5]
	v_add_f64 v[60:61], v[60:61], v[68:69]
	v_add_f64 v[68:69], v[154:155], -v[152:153]
	v_add_f64 v[114:115], v[114:115], -v[163:164]
	v_mul_f64 v[152:153], v[74:75], s[2:3]
	v_fma_f64 v[48:49], v[48:49], s[22:23], -v[150:151]
	v_fma_f64 v[44:45], v[44:45], s[20:21], v[56:57]
	v_fma_f64 v[52:53], v[52:53], s[4:5], v[102:103]
	;; [unrolled: 1-line block ×4, first 2 shown]
	v_add_f64 v[193:194], v[78:79], v[96:97]
	v_fma_f64 v[62:63], v[114:115], s[8:9], -v[161:162]
	v_fma_f64 v[78:79], v[134:135], s[22:23], -v[152:153]
	v_fma_f64 v[134:135], v[54:55], s[14:15], v[48:49]
	v_fma_f64 v[48:49], v[68:69], s[6:7], -v[84:85]
	v_fma_f64 v[84:85], v[114:115], s[6:7], -v[102:103]
	;; [unrolled: 1-line block ×3, first 2 shown]
	v_add_f64 v[203:204], v[52:53], v[44:45]
	ds_read2_b64 v[213:216], v239 offset0:70 offset1:119
	v_add_f64 v[102:103], v[62:63], v[44:45]
	s_waitcnt vmcnt(2)
	v_mul_f64 v[124:125], v[177:178], v[205:206]
	ds_read2_b64 v[152:155], v200 offset0:152 offset1:201
	v_fma_f64 v[52:53], v[68:69], s[8:9], -v[148:149]
	v_add_f64 v[44:45], v[84:85], v[44:45]
	v_fma_f64 v[84:85], v[60:61], s[14:15], v[74:75]
	v_mul_f64 v[74:75], v[159:160], v[209:210]
	v_fma_f64 v[68:69], v[50:51], s[2:3], -v[92:93]
	v_fma_f64 v[114:115], v[60:61], s[14:15], v[78:79]
	s_waitcnt lgkmcnt(0)
	v_mul_f64 v[161:162], v[112:113], v[154:155]
	s_waitcnt vmcnt(1)
	v_mul_f64 v[181:182], v[142:143], v[185:186]
	v_fma_f64 v[124:125], v[76:77], v[175:176], v[124:125]
	v_mul_f64 v[76:77], v[76:77], v[177:178]
	v_add_f64 v[92:93], v[52:53], v[96:97]
	v_fma_f64 v[173:174], v[108:109], v[157:158], v[74:75]
	v_mul_f64 v[74:75], v[185:186], v[215:216]
	v_add_f64 v[78:79], v[48:49], v[96:97]
	v_fma_f64 v[68:69], v[54:55], s[14:15], v[68:69]
	v_add_f64 v[52:53], v[102:103], -v[114:115]
	v_fma_f64 v[161:162], v[132:133], v[110:111], v[161:162]
	ds_read2_b64 v[148:151], v117 offset0:106 offset1:155
	v_mul_f64 v[108:109], v[108:109], v[159:160]
	s_waitcnt vmcnt(0)
	v_mul_f64 v[159:160], v[191:192], v[201:202]
	v_fma_f64 v[142:143], v[142:143], v[183:184], v[74:75]
	v_mul_f64 v[74:75], v[132:133], v[112:113]
	v_add_f64 v[54:55], v[134:135], v[92:93]
	v_add_f64 v[62:63], v[78:79], -v[68:69]
	s_waitcnt lgkmcnt(0)
	v_mul_f64 v[96:97], v[167:168], v[150:151]
	v_mul_f64 v[167:168], v[146:147], v[167:168]
	v_fma_f64 v[108:109], v[157:158], v[209:210], -v[108:109]
	v_fma_f64 v[112:113], v[72:73], v[189:190], v[159:160]
	v_mul_f64 v[179:180], v[72:73], v[191:192]
	v_fma_f64 v[110:111], v[110:111], v[154:155], -v[74:75]
	v_fma_f64 v[154:155], v[175:176], v[205:206], -v[76:77]
	v_add_f64 v[76:77], v[114:115], v[102:103]
	v_mov_b32_e32 v102, 0xfffffc8e
	v_mad_u32_u24 v186, v242, 6, v102
	v_lshlrev_b64 v[102:103], 4, v[186:187]
	v_add_f64 v[74:75], v[68:69], v[78:79]
	v_add_co_u32_e32 v114, vcc, s12, v102
	v_addc_co_u32_e32 v115, vcc, v156, v103, vcc
	v_add_co_u32_e32 v102, vcc, s28, v114
	v_addc_co_u32_e32 v103, vcc, 0, v115, vcc
	v_add_f64 v[78:79], v[92:93], -v[134:135]
	global_load_dwordx4 v[132:135], v[102:103], off offset:1280
	global_load_dwordx4 v[157:160], v[102:103], off offset:1344
	v_add_co_u32_e32 v102, vcc, s0, v114
	v_addc_co_u32_e32 v103, vcc, 0, v115, vcc
	v_fma_f64 v[150:151], v[165:166], v[150:151], -v[167:168]
	v_fma_f64 v[96:97], v[146:147], v[165:166], v[96:97]
	global_load_dwordx4 v[165:168], v[102:103], off offset:32
	v_add_co_u32_e32 v114, vcc, s1, v114
	v_addc_co_u32_e32 v115, vcc, 0, v115, vcc
	v_fma_f64 v[201:202], v[189:190], v[201:202], -v[179:180]
	v_fma_f64 v[182:183], v[183:184], v[215:216], -v[181:182]
	v_add_f64 v[184:185], v[173:174], -v[142:143]
	v_add_f64 v[142:143], v[173:174], v[142:143]
	global_load_dwordx4 v[174:177], v[114:115], off offset:16
	global_load_dwordx4 v[178:181], v[102:103], off offset:48
	;; [unrolled: 1-line block ×3, first 2 shown]
	v_fma_f64 v[169:170], v[60:61], s[14:15], v[169:170]
	v_add_f64 v[60:61], v[84:85], v[44:45]
	v_add_f64 v[72:73], v[44:45], -v[84:85]
	v_add_f64 v[44:45], v[96:97], -v[112:113]
	v_add_f64 v[96:97], v[96:97], v[112:113]
	v_add_f64 v[207:208], v[150:151], v[201:202]
	;; [unrolled: 1-line block ×3, first 2 shown]
	v_add_f64 v[146:147], v[124:125], -v[161:162]
	v_add_f64 v[124:125], v[124:125], v[161:162]
	v_add_f64 v[92:93], v[154:155], v[110:111]
	v_add_f64 v[110:111], v[154:155], -v[110:111]
	v_add_f64 v[108:109], v[108:109], -v[182:183]
	v_add_f64 v[215:216], v[96:97], v[142:143]
	v_add_f64 v[150:151], v[150:151], -v[201:202]
	v_add_f64 v[84:85], v[207:208], v[209:210]
	v_add_f64 v[112:113], v[146:147], v[184:185]
	v_add_f64 v[68:69], v[146:147], -v[184:185]
	v_add_f64 v[205:206], v[44:45], -v[146:147]
	v_add_f64 v[146:147], v[92:93], -v[209:210]
	v_add_f64 v[161:162], v[124:125], -v[142:143]
	v_add_f64 v[102:103], v[124:125], v[215:216]
	v_add_f64 v[182:183], v[110:111], -v[108:109]
	v_add_f64 v[84:85], v[92:93], v[84:85]
	v_add_f64 v[221:222], v[44:45], v[112:113]
	v_add_f64 v[92:93], v[207:208], -v[92:93]
	v_add_f64 v[124:125], v[96:97], -v[124:125]
	v_mul_f64 v[146:147], v[146:147], s[16:17]
	v_add_f64 v[207:208], v[209:210], -v[207:208]
	v_add_f64 v[112:113], v[100:101], v[102:103]
	v_add_f64 v[100:101], v[110:111], v[108:109]
	;; [unrolled: 1-line block ×3, first 2 shown]
	v_mul_f64 v[211:212], v[161:162], s[16:17]
	v_add_f64 v[161:162], v[150:151], -v[110:111]
	v_mul_f64 v[223:224], v[182:183], s[18:19]
	v_fma_f64 v[201:202], v[92:93], s[4:5], v[146:147]
	v_add_f64 v[44:45], v[184:185], -v[44:45]
	v_fma_f64 v[227:228], v[102:103], s[20:21], v[112:113]
	v_add_f64 v[229:230], v[150:151], v[100:101]
	v_add_f64 v[150:151], v[108:109], -v[150:151]
	v_fma_f64 v[84:85], v[84:85], s[20:21], v[114:115]
	v_fma_f64 v[182:183], v[124:125], s[4:5], v[211:212]
	v_add_f64 v[96:97], v[142:143], -v[96:97]
	v_fma_f64 v[142:143], v[207:208], s[6:7], -v[146:147]
	v_mov_b32_e32 v146, 0xfffffb68
	v_mad_u32_u24 v186, v242, 6, v146
	v_mul_f64 v[92:93], v[92:93], s[4:5]
	v_mul_f64 v[108:109], v[150:151], s[2:3]
	v_add_f64 v[225:226], v[201:202], v[84:85]
	v_fma_f64 v[184:185], v[161:162], s[24:25], v[223:224]
	v_mul_f64 v[201:202], v[44:45], s[2:3]
	v_lshlrev_b64 v[146:147], 4, v[186:187]
	v_add_f64 v[50:51], v[163:164], v[193:194]
	v_add_co_u32_e32 v171, vcc, s12, v146
	v_addc_co_u32_e32 v173, vcc, v156, v147, vcc
	v_add_co_u32_e32 v146, vcc, s28, v171
	v_addc_co_u32_e32 v147, vcc, 0, v173, vcc
	v_mul_f64 v[68:69], v[68:69], s[18:19]
	v_add_f64 v[102:103], v[193:194], -v[163:164]
	v_add_f64 v[163:164], v[182:183], v[227:228]
	v_add_co_u32_e32 v182, vcc, s1, v171
	v_fma_f64 v[231:232], v[161:162], s[22:23], -v[108:109]
	s_waitcnt vmcnt(5)
	v_mul_f64 v[161:162], v[134:135], v[148:149]
	v_mul_f64 v[134:135], v[144:145], v[134:135]
	v_addc_co_u32_e32 v183, vcc, 0, v173, vcc
	v_add_f64 v[48:49], v[203:204], -v[169:170]
	v_add_f64 v[100:101], v[169:170], v[203:204]
	v_fma_f64 v[169:170], v[229:230], s[14:15], v[184:185]
	v_fma_f64 v[193:194], v[205:206], s[22:23], -v[201:202]
	v_fma_f64 v[92:93], v[207:208], s[8:9], -v[92:93]
	global_load_dwordx4 v[201:204], v[146:147], off offset:1344
	s_nop 0
	global_load_dwordx4 v[183:186], v[182:183], off offset:16
	v_mul_f64 v[124:125], v[124:125], s[4:5]
	v_fma_f64 v[154:155], v[205:206], s[24:25], v[68:69]
	v_fma_f64 v[44:45], v[44:45], s[2:3], -v[68:69]
	v_fma_f64 v[68:69], v[144:145], v[132:133], v[161:162]
	v_fma_f64 v[148:149], v[132:133], v[148:149], -v[134:135]
	s_waitcnt vmcnt(5)
	v_mul_f64 v[132:133], v[167:168], v[152:153]
	v_add_f64 v[92:93], v[92:93], v[84:85]
	v_add_f64 v[84:85], v[142:143], v[84:85]
	v_fma_f64 v[142:143], v[221:222], s[14:15], v[193:194]
	v_fma_f64 v[193:194], v[96:97], s[8:9], -v[124:125]
	v_mul_f64 v[124:125], v[159:160], v[213:214]
	v_mul_f64 v[134:135], v[140:141], v[159:160]
	ds_read2_b64 v[205:208], v245 offset0:108 offset1:157
	ds_read2_b64 v[159:162], v116 offset0:190 offset1:239
	v_fma_f64 v[96:97], v[96:97], s[6:7], -v[211:212]
	ds_read2_b64 v[209:212], v195 offset0:16 offset1:65
	v_fma_f64 v[233:234], v[130:131], v[165:166], v[132:133]
	v_mul_f64 v[130:131], v[130:131], v[167:168]
	v_add_co_u32_e32 v167, vcc, s0, v171
	v_addc_co_u32_e32 v168, vcc, 0, v173, vcc
	v_fma_f64 v[144:145], v[140:141], v[157:158], v[124:125]
	v_fma_f64 v[157:158], v[157:158], v[213:214], -v[134:135]
	global_load_dwordx4 v[213:216], v[167:168], off offset:32
	global_load_dwordx4 v[217:220], v[167:168], off offset:16
	s_waitcnt vmcnt(6) lgkmcnt(2)
	v_mul_f64 v[140:141], v[176:177], v[207:208]
	s_waitcnt vmcnt(5) lgkmcnt(1)
	v_mul_f64 v[124:125], v[180:181], v[161:162]
	;; [unrolled: 2-line block ×3, first 2 shown]
	v_fma_f64 v[154:155], v[221:222], s[14:15], v[154:155]
	v_fma_f64 v[44:45], v[221:222], s[14:15], v[44:45]
	v_fma_f64 v[237:238], v[165:166], v[152:153], -v[130:131]
	v_add_f64 v[96:97], v[96:97], v[227:228]
	v_mul_f64 v[130:131], v[138:139], v[176:177]
	v_mul_f64 v[134:135], v[128:129], v[191:192]
	v_fma_f64 v[221:222], v[122:123], v[178:179], v[124:125]
	v_fma_f64 v[235:236], v[128:129], v[189:190], v[132:133]
	v_fma_f64 v[132:133], v[150:151], s[2:3], -v[223:224]
	v_fma_f64 v[223:224], v[138:139], v[174:175], v[140:141]
	global_load_dwordx4 v[150:153], v[146:147], off offset:1280
	v_add_f64 v[165:166], v[193:194], v[227:228]
	v_fma_f64 v[176:177], v[229:230], s[14:15], v[231:232]
	v_mul_f64 v[122:123], v[122:123], v[180:181]
	v_add_f64 v[138:139], v[221:222], -v[233:234]
	v_add_f64 v[239:240], v[235:236], -v[144:145]
	v_fma_f64 v[132:133], v[229:230], s[14:15], v[132:133]
	v_add_f64 v[191:192], v[68:69], -v[223:224]
	v_fma_f64 v[193:194], v[174:175], v[207:208], -v[130:131]
	v_add_f64 v[130:131], v[84:85], -v[44:45]
	v_fma_f64 v[189:190], v[189:190], v[211:212], -v[134:135]
	v_add_f64 v[134:135], v[44:45], v[84:85]
	v_fma_f64 v[146:147], v[178:179], v[161:162], -v[122:123]
	v_add_f64 v[140:141], v[138:139], -v[239:240]
	v_add_f64 v[128:129], v[132:133], v[96:97]
	v_add_f64 v[132:133], v[96:97], -v[132:133]
	v_add_f64 v[44:45], v[191:192], -v[138:139]
	v_add_f64 v[96:97], v[138:139], v[239:240]
	v_add_f64 v[122:123], v[165:166], -v[176:177]
	v_add_f64 v[138:139], v[176:177], v[165:166]
	global_load_dwordx4 v[165:168], v[167:168], off offset:48
	v_add_f64 v[124:125], v[142:143], v[92:93]
	v_mul_f64 v[84:85], v[140:141], s[18:19]
	v_add_f64 v[180:181], v[148:149], v[193:194]
	v_add_f64 v[161:162], v[189:190], v[157:158]
	v_add_f64 v[140:141], v[92:93], -v[142:143]
	v_add_f64 v[68:69], v[68:69], v[223:224]
	v_add_f64 v[92:93], v[235:236], v[144:145]
	;; [unrolled: 1-line block ×4, first 2 shown]
	v_add_f64 v[144:145], v[225:226], -v[154:155]
	v_add_f64 v[211:212], v[221:222], v[233:234]
	v_add_f64 v[177:178], v[180:181], v[161:162]
	v_fma_f64 v[173:174], v[44:45], s[24:25], v[84:85]
	v_add_f64 v[96:97], v[191:192], v[96:97]
	v_add_f64 v[154:155], v[68:69], v[92:93]
	v_add_f64 v[108:109], v[163:164], -v[169:170]
	v_add_f64 v[142:143], v[169:170], v[163:164]
	v_add_f64 v[221:222], v[146:147], -v[237:238]
	v_add_f64 v[157:158], v[189:190], -v[157:158]
	v_add_f64 v[177:178], v[207:208], v[177:178]
	s_waitcnt vmcnt(4)
	v_mul_f64 v[169:170], v[185:186], v[205:206]
	v_add_f64 v[146:147], v[207:208], -v[161:162]
	v_add_f64 v[154:155], v[211:212], v[154:155]
	v_add_f64 v[189:190], v[211:212], -v[92:93]
	v_fma_f64 v[163:164], v[96:97], s[14:15], v[173:174]
	ds_read2_b64 v[173:176], v188 offset0:98 offset1:147
	v_add_f64 v[193:194], v[148:149], -v[193:194]
	v_add_f64 v[118:119], v[68:69], -v[211:212]
	v_fma_f64 v[169:170], v[136:137], v[183:184], v[169:170]
	v_mul_f64 v[136:137], v[136:137], v[185:186]
	v_add_f64 v[185:186], v[221:222], -v[157:158]
	s_waitcnt lgkmcnt(0)
	v_add_f64 v[148:149], v[175:176], v[177:178]
	v_add_f64 v[175:176], v[180:181], -v[207:208]
	v_add_f64 v[207:208], v[239:240], -v[191:192]
	v_mul_f64 v[191:192], v[146:147], s[16:17]
	v_add_f64 v[146:147], v[248:249], v[154:155]
	v_mul_f64 v[211:212], v[189:190], s[16:17]
	v_fma_f64 v[136:137], v[183:184], v[205:206], -v[136:137]
	v_mul_f64 v[223:224], v[185:186], s[18:19]
	v_add_f64 v[184:185], v[221:222], v[157:158]
	v_add_f64 v[161:162], v[161:162], -v[180:181]
	v_add_f64 v[157:158], v[157:158], -v[193:194]
	;; [unrolled: 1-line block ×3, first 2 shown]
	v_fma_f64 v[205:206], v[177:178], s[20:21], v[148:149]
	v_mul_f64 v[177:178], v[175:176], s[4:5]
	s_waitcnt vmcnt(2)
	v_mul_f64 v[179:180], v[219:220], v[209:210]
	v_fma_f64 v[175:176], v[175:176], s[4:5], v[191:192]
	v_fma_f64 v[154:155], v[154:155], s[20:21], v[146:147]
	;; [unrolled: 1-line block ×3, first 2 shown]
	v_mul_f64 v[182:183], v[207:208], s[2:3]
	v_add_f64 v[225:226], v[193:194], v[184:185]
	v_mul_f64 v[184:185], v[126:127], v[219:220]
	v_mov_b32_e32 v171, 0xfffffa42
	v_fma_f64 v[126:127], v[126:127], v[217:218], v[179:180]
	v_mul_f64 v[179:180], v[157:158], s[2:3]
	v_add_f64 v[193:194], v[175:176], v[205:206]
	v_add_f64 v[219:220], v[221:222], v[154:155]
	v_fma_f64 v[221:222], v[161:162], s[8:9], -v[177:178]
	ds_read2_b64 v[175:178], v244 offset0:136 offset1:185
	v_fma_f64 v[44:45], v[44:45], s[22:23], -v[182:183]
	v_fma_f64 v[182:183], v[189:190], s[24:25], v[223:224]
	v_mad_u32_u24 v186, v242, 6, v171
	v_fma_f64 v[161:162], v[161:162], s[6:7], -v[191:192]
	v_add_f64 v[68:69], v[92:93], -v[68:69]
	s_waitcnt vmcnt(1)
	v_mul_f64 v[92:93], v[106:107], v[152:153]
	v_lshlrev_b64 v[171:172], 4, v[186:187]
	v_fma_f64 v[209:210], v[217:218], v[209:210], -v[184:185]
	v_add_co_u32_e32 v195, vcc, s12, v171
	s_waitcnt lgkmcnt(0)
	v_mul_f64 v[217:218], v[152:153], v[177:178]
	v_fma_f64 v[152:153], v[189:190], s[22:23], -v[179:180]
	ds_read2_b64 v[189:192], v241 offset0:100 offset1:149
	v_addc_co_u32_e32 v227, vcc, v156, v172, vcc
	v_add_co_u32_e32 v171, vcc, s28, v195
	v_fma_f64 v[84:85], v[207:208], s[2:3], -v[84:85]
	v_addc_co_u32_e32 v172, vcc, 0, v227, vcc
	v_fma_f64 v[181:182], v[225:226], s[14:15], v[182:183]
	global_load_dwordx4 v[183:186], v[171:172], off offset:1280
	v_add_f64 v[179:180], v[221:222], v[205:206]
	v_add_f64 v[161:162], v[161:162], v[205:206]
	s_waitcnt lgkmcnt(0)
	v_mul_f64 v[207:208], v[203:204], v[191:192]
	v_fma_f64 v[177:178], v[150:151], v[177:178], -v[92:93]
	v_mul_f64 v[92:93], v[90:91], v[203:204]
	ds_read2_b64 v[203:206], v200 offset0:54 offset1:103
	v_mul_f64 v[118:119], v[118:119], s[4:5]
	v_fma_f64 v[44:45], v[96:97], s[14:15], v[44:45]
	v_fma_f64 v[106:107], v[106:107], v[150:151], v[217:218]
	;; [unrolled: 1-line block ×3, first 2 shown]
	s_waitcnt vmcnt(1)
	v_mul_f64 v[84:85], v[167:168], v[159:160]
	s_waitcnt lgkmcnt(0)
	v_mul_f64 v[150:151], v[215:216], v[205:206]
	v_fma_f64 v[207:208], v[90:91], v[201:202], v[207:208]
	v_fma_f64 v[156:157], v[157:158], s[2:3], -v[223:224]
	v_fma_f64 v[118:119], v[68:69], s[8:9], -v[118:119]
	;; [unrolled: 1-line block ×4, first 2 shown]
	v_add_f64 v[221:222], v[177:178], v[136:137]
	v_fma_f64 v[201:202], v[120:121], v[165:166], v[84:85]
	v_mul_f64 v[120:121], v[120:121], v[167:168]
	v_fma_f64 v[167:168], v[82:83], v[213:214], v[150:151]
	v_mul_f64 v[82:83], v[82:83], v[215:216]
	v_add_f64 v[211:212], v[118:119], v[154:155]
	v_add_f64 v[68:69], v[68:69], v[154:155]
	v_fma_f64 v[154:155], v[225:226], s[14:15], v[152:153]
	v_fma_f64 v[150:151], v[225:226], s[14:15], v[156:157]
	v_add_f64 v[217:218], v[126:127], -v[207:208]
	v_add_f64 v[225:226], v[106:107], v[169:170]
	v_add_f64 v[126:127], v[126:127], v[207:208]
	v_fma_f64 v[215:216], v[165:166], v[159:160], -v[120:121]
	v_fma_f64 v[205:206], v[213:214], v[205:206], -v[82:83]
	v_add_f64 v[223:224], v[209:210], v[191:192]
	v_add_f64 v[120:121], v[161:162], -v[96:97]
	v_add_f64 v[158:159], v[201:202], -v[167:168]
	v_add_f64 v[152:153], v[96:97], v[161:162]
	v_add_f64 v[166:167], v[201:202], v[167:168]
	;; [unrolled: 1-line block ×4, first 2 shown]
	v_add_f64 v[150:151], v[68:69], -v[150:151]
	v_add_f64 v[68:69], v[106:107], -v[169:170]
	v_add_f64 v[106:107], v[221:222], v[223:224]
	v_add_f64 v[169:170], v[215:216], v[205:206]
	;; [unrolled: 1-line block ×3, first 2 shown]
	v_add_f64 v[116:117], v[177:178], -v[136:137]
	v_add_f64 v[229:230], v[166:167], v[160:161]
	v_add_f64 v[160:161], v[193:194], -v[163:164]
	v_add_f64 v[177:178], v[209:210], -v[191:192]
	global_load_dwordx4 v[191:194], v[171:172], off offset:1344
	v_add_f64 v[84:85], v[44:45], v[179:180]
	v_add_f64 v[106:107], v[169:170], v[106:107]
	v_add_f64 v[201:202], v[169:170], -v[223:224]
	v_add_f64 v[168:169], v[221:222], -v[169:170]
	v_add_co_u32_e32 v170, vcc, s0, v195
	v_addc_co_u32_e32 v171, vcc, 0, v227, vcc
	v_add_co_u32_e32 v209, vcc, s1, v195
	v_addc_co_u32_e32 v210, vcc, 0, v227, vcc
	v_add_f64 v[82:83], v[211:212], -v[154:155]
	v_add_f64 v[156:157], v[179:180], -v[44:45]
	v_add_f64 v[179:180], v[158:159], v[217:218]
	v_add_f64 v[154:155], v[154:155], v[211:212]
	global_load_dwordx4 v[209:212], v[209:210], off offset:16
	v_add_f64 v[90:91], v[219:220], -v[181:182]
	v_add_f64 v[96:97], v[158:159], -v[217:218]
	;; [unrolled: 1-line block ×3, first 2 shown]
	v_add_f64 v[158:159], v[181:182], v[219:220]
	v_add_f64 v[136:137], v[215:216], -v[205:206]
	v_add_f64 v[179:180], v[68:69], v[179:180]
	v_add_f64 v[68:69], v[217:218], -v[68:69]
	global_load_dwordx4 v[205:208], v[170:171], off offset:48
	global_load_dwordx4 v[213:216], v[170:171], off offset:32
	;; [unrolled: 1-line block ×3, first 2 shown]
	v_mul_f64 v[96:97], v[96:97], s[18:19]
	v_add_f64 v[164:165], v[173:174], v[106:107]
	v_mul_f64 v[173:174], v[201:202], s[16:17]
	v_mul_f64 v[227:228], v[168:169], s[4:5]
	s_waitcnt vmcnt(5)
	v_mul_f64 v[201:202], v[185:186], v[175:176]
	v_mul_f64 v[185:186], v[104:105], v[185:186]
	v_add_f64 v[162:163], v[246:247], v[229:230]
	v_fma_f64 v[181:182], v[44:45], s[24:25], v[96:97]
	v_fma_f64 v[106:107], v[106:107], s[20:21], v[164:165]
	;; [unrolled: 1-line block ×3, first 2 shown]
	v_fma_f64 v[239:240], v[183:184], v[175:176], -v[185:186]
	v_mul_f64 v[185:186], v[68:69], s[2:3]
	v_fma_f64 v[68:69], v[68:69], s[2:3], -v[96:97]
	v_add_co_u32_e32 v96, vcc, s28, v32
	v_addc_co_u32_e32 v97, vcc, 0, v33, vcc
	v_fma_f64 v[104:105], v[168:169], s[4:5], v[173:174]
	v_add_f64 v[168:169], v[225:226], -v[166:167]
	v_add_f64 v[175:176], v[136:137], v[177:178]
	v_add_f64 v[166:167], v[166:167], -v[126:127]
	v_add_f64 v[183:184], v[136:137], -v[177:178]
	v_add_f64 v[201:202], v[223:224], -v[221:222]
	global_load_dwordx4 v[221:224], v[96:97], off offset:1344
	v_add_f64 v[170:171], v[177:178], -v[116:117]
	v_add_f64 v[136:137], v[116:117], -v[136:137]
	v_fma_f64 v[44:45], v[44:45], s[22:23], -v[185:186]
	v_add_f64 v[116:117], v[116:117], v[175:176]
	v_mul_f64 v[175:176], v[168:169], s[4:5]
	v_mul_f64 v[166:167], v[166:167], s[16:17]
	;; [unrolled: 1-line block ×3, first 2 shown]
	v_fma_f64 v[183:184], v[201:202], s[8:9], -v[227:228]
	v_add_f64 v[126:127], v[126:127], -v[225:226]
	v_mul_f64 v[185:186], v[170:171], s[2:3]
	v_fma_f64 v[172:173], v[201:202], s[6:7], -v[173:174]
	v_add_co_u32_e32 v241, vcc, s0, v32
	v_addc_co_u32_e32 v242, vcc, 0, v33, vcc
	v_fma_f64 v[201:202], v[179:180], s[14:15], v[181:182]
	v_fma_f64 v[168:169], v[168:169], s[4:5], v[166:167]
	v_fma_f64 v[181:182], v[136:137], s[22:23], -v[185:186]
	v_fma_f64 v[44:45], v[179:180], s[14:15], v[44:45]
	v_fma_f64 v[174:175], v[126:127], s[8:9], -v[175:176]
	v_fma_f64 v[126:127], v[126:127], s[6:7], -v[166:167]
	;; [unrolled: 1-line block ×3, first 2 shown]
	global_load_dwordx4 v[225:228], v[241:242], off offset:16
	v_fma_f64 v[170:171], v[229:230], s[20:21], v[162:163]
	v_add_f64 v[185:186], v[104:105], v[106:107]
	v_add_f64 v[104:105], v[183:184], v[106:107]
	v_fma_f64 v[136:137], v[136:137], s[24:25], v[177:178]
	v_fma_f64 v[68:69], v[179:180], s[14:15], v[68:69]
	v_add_f64 v[176:177], v[172:173], v[106:107]
	v_fma_f64 v[166:167], v[116:117], s[14:15], v[166:167]
	v_fma_f64 v[178:179], v[116:117], s[14:15], v[181:182]
	v_add_f64 v[126:127], v[126:127], v[170:171]
	v_add_f64 v[182:183], v[168:169], v[170:171]
	;; [unrolled: 1-line block ×3, first 2 shown]
	v_add_f64 v[180:181], v[104:105], -v[44:45]
	s_waitcnt vmcnt(6)
	v_mul_f64 v[44:45], v[88:89], v[193:194]
	v_add_f64 v[172:173], v[176:177], -v[68:69]
	v_add_f64 v[176:177], v[68:69], v[176:177]
	v_mul_f64 v[68:69], v[193:194], v[189:190]
	ds_read2_b64 v[229:232], v245 offset0:10 offset1:59
	v_add_f64 v[106:107], v[174:175], v[170:171]
	v_fma_f64 v[116:117], v[116:117], s[14:15], v[136:137]
	v_add_f64 v[170:171], v[166:167], v[126:127]
	v_add_f64 v[174:175], v[126:127], -v[166:167]
	v_fma_f64 v[126:127], v[191:192], v[189:190], -v[44:45]
	s_waitcnt vmcnt(5) lgkmcnt(0)
	v_mul_f64 v[44:45], v[211:212], v[231:232]
	v_fma_f64 v[88:89], v[88:89], v[191:192], v[68:69]
	ds_read2_b64 v[189:192], v250 offset0:92 offset1:141
	ds_read2_b64 v[233:236], v243 offset0:174 offset1:223
	v_mul_f64 v[68:69], v[42:43], v[211:212]
	v_add_f64 v[104:105], v[182:183], -v[116:117]
	v_add_f64 v[182:183], v[116:117], v[182:183]
	s_waitcnt vmcnt(3)
	v_mul_f64 v[136:137], v[215:216], v[203:204]
	v_add_f64 v[166:167], v[106:107], -v[178:179]
	v_fma_f64 v[116:117], v[42:43], v[209:210], v[44:45]
	s_waitcnt lgkmcnt(1)
	v_mul_f64 v[42:43], v[207:208], v[191:192]
	s_waitcnt vmcnt(2) lgkmcnt(0)
	v_mul_f64 v[44:45], v[219:220], v[235:236]
	v_add_f64 v[178:179], v[178:179], v[106:107]
	v_add_f64 v[106:107], v[201:202], v[185:186]
	v_add_f64 v[184:185], v[185:186], -v[201:202]
	v_fma_f64 v[209:210], v[209:210], v[231:232], -v[68:69]
	v_fma_f64 v[136:137], v[80:81], v[213:214], v[136:137]
	v_mul_f64 v[68:69], v[80:81], v[215:216]
	v_mul_lo_u32 v186, s27, v198
	v_mul_lo_u32 v193, s26, v199
	v_mad_u64_u32 v[80:81], s[12:13], s26, v198, 0
	v_fma_f64 v[198:199], v[38:39], v[205:206], v[42:43]
	v_fma_f64 v[211:212], v[66:67], v[217:218], v[44:45]
	v_mul_f64 v[66:67], v[66:67], v[219:220]
	v_mul_f64 v[38:39], v[38:39], v[207:208]
	v_add_co_u32_e32 v32, vcc, s1, v32
	v_addc_co_u32_e32 v33, vcc, 0, v33, vcc
	v_fma_f64 v[213:214], v[213:214], v[203:204], -v[68:69]
	global_load_dwordx4 v[42:45], v[32:33], off offset:16
	v_fma_f64 v[207:208], v[217:218], v[235:236], -v[66:67]
	global_load_dwordx4 v[66:69], v[241:242], off offset:32
	v_add3_u32 v81, v81, v193, v186
	v_fma_f64 v[38:39], v[205:206], v[191:192], -v[38:39]
	global_load_dwordx4 v[191:194], v[96:97], off offset:1280
	global_load_dwordx4 v[201:204], v[241:242], off offset:48
	s_waitcnt vmcnt(5)
	v_mul_f64 v[32:33], v[223:224], v[98:99]
	v_mul_f64 v[96:97], v[70:71], v[223:224]
	v_add_f64 v[205:206], v[211:212], -v[88:89]
	v_add_f64 v[217:218], v[237:238], -v[116:117]
	v_add_f64 v[219:220], v[239:240], v[209:210]
	v_add_f64 v[116:117], v[237:238], v[116:117]
	;; [unrolled: 1-line block ×4, first 2 shown]
	v_fma_f64 v[70:71], v[70:71], v[221:222], v[32:33]
	v_add_f64 v[32:33], v[198:199], -v[136:137]
	v_fma_f64 v[215:216], v[221:222], v[98:99], -v[96:97]
	v_add_f64 v[221:222], v[207:208], v[126:127]
	v_add_f64 v[38:39], v[38:39], -v[213:214]
	v_add_f64 v[126:127], v[207:208], -v[126:127]
	v_add_f64 v[136:137], v[198:199], v[136:137]
	v_add_f64 v[207:208], v[219:220], -v[211:212]
	s_mov_b32 s0, 0xbf112a8b
	v_add_f64 v[98:99], v[32:33], -v[205:206]
	s_movk_i32 s1, 0x5000
	v_add_f64 v[213:214], v[219:220], v[221:222]
	v_add_f64 v[219:220], v[221:222], -v[219:220]
	s_waitcnt vmcnt(4)
	v_mul_f64 v[96:97], v[227:228], v[233:234]
	v_add_f64 v[235:236], v[136:137], -v[88:89]
	v_mul_f64 v[231:232], v[98:99], s[18:19]
	v_fma_f64 v[223:224], v[64:65], v[225:226], v[96:97]
	v_mul_f64 v[64:65], v[64:65], v[227:228]
	v_add_f64 v[227:228], v[217:218], -v[32:33]
	v_add_f64 v[32:33], v[32:33], v[205:206]
	ds_read2_b64 v[96:99], v188 offset1:49
	v_add_f64 v[205:206], v[205:206], -v[217:218]
	v_fma_f64 v[225:226], v[225:226], v[233:234], -v[64:65]
	v_add_f64 v[64:65], v[211:212], -v[221:222]
	v_add_f64 v[233:234], v[116:117], v[88:89]
	v_add_f64 v[198:199], v[217:218], v[32:33]
	v_add_f64 v[32:33], v[239:240], -v[209:210]
	v_add_f64 v[209:210], v[211:212], v[213:214]
	v_add_f64 v[211:212], v[38:39], v[126:127]
	v_mul_f64 v[213:214], v[207:208], s[4:5]
	v_add_f64 v[88:89], v[88:89], -v[116:117]
	v_mul_f64 v[64:65], v[64:65], s[16:17]
	v_add_f64 v[233:234], v[136:137], v[233:234]
	v_fma_f64 v[221:222], v[227:228], s[24:25], v[231:232]
	v_add_f64 v[217:218], v[32:33], -v[38:39]
	v_add_f64 v[38:39], v[38:39], -v[126:127]
	v_add_f64 v[211:212], v[32:33], v[211:212]
	v_add_f64 v[126:127], v[126:127], -v[32:33]
	s_waitcnt lgkmcnt(0)
	v_add_f64 v[32:33], v[98:99], v[209:210]
	v_add_f64 v[98:99], v[116:117], -v[136:137]
	v_mul_f64 v[116:117], v[205:206], s[2:3]
	v_fma_f64 v[136:137], v[207:208], s[4:5], v[64:65]
	v_add_f64 v[30:31], v[30:31], v[233:234]
	v_fma_f64 v[213:214], v[219:220], s[8:9], -v[213:214]
	v_fma_f64 v[64:65], v[219:220], s[6:7], -v[64:65]
	v_mul_f64 v[219:220], v[126:127], s[2:3]
	v_mul_f64 v[38:39], v[38:39], s[18:19]
	v_fma_f64 v[209:210], v[209:210], s[20:21], v[32:33]
	v_mul_f64 v[207:208], v[235:236], s[16:17]
	v_fma_f64 v[116:117], v[227:228], s[22:23], -v[116:117]
	v_fma_f64 v[227:228], v[233:234], s[20:21], v[30:31]
	v_fma_f64 v[205:206], v[205:206], s[2:3], -v[231:232]
	v_fma_f64 v[221:222], v[198:199], s[14:15], v[221:222]
	v_fma_f64 v[219:220], v[217:218], s[22:23], -v[219:220]
	v_fma_f64 v[217:218], v[217:218], s[24:25], v[38:39]
	v_add_f64 v[136:137], v[136:137], v[209:210]
	v_add_f64 v[213:214], v[213:214], v[209:210]
	;; [unrolled: 1-line block ×3, first 2 shown]
	s_waitcnt vmcnt(3)
	v_mul_f64 v[209:210], v[40:41], v[44:45]
	v_fma_f64 v[38:39], v[126:127], s[2:3], -v[38:39]
	s_waitcnt vmcnt(2)
	v_mul_f64 v[233:234], v[68:69], v[86:87]
	v_fma_f64 v[231:232], v[98:99], s[4:5], v[207:208]
	v_mul_f64 v[98:99], v[98:99], s[4:5]
	s_waitcnt vmcnt(0)
	v_mul_f64 v[126:127], v[203:204], v[189:190]
	v_fma_f64 v[116:117], v[198:199], s[14:15], v[116:117]
	v_fma_f64 v[198:199], v[198:199], s[14:15], v[205:206]
	v_mul_f64 v[205:206], v[34:35], v[193:194]
	v_fma_f64 v[209:210], v[42:43], v[229:230], -v[209:210]
	v_mul_f64 v[44:45], v[44:45], v[229:230]
	v_mul_f64 v[193:194], v[193:194], v[94:95]
	v_fma_f64 v[229:230], v[46:47], v[66:67], v[233:234]
	v_fma_f64 v[126:127], v[36:37], v[201:202], v[126:127]
	;; [unrolled: 1-line block ×3, first 2 shown]
	v_fma_f64 v[98:99], v[88:89], s[8:9], -v[98:99]
	v_fma_f64 v[94:95], v[191:192], v[94:95], -v[205:206]
	v_fma_f64 v[219:220], v[211:212], s[14:15], v[219:220]
	v_fma_f64 v[211:212], v[211:212], s[14:15], v[38:39]
	v_mul_f64 v[38:39], v[46:47], v[68:69]
	v_mul_f64 v[36:37], v[36:37], v[203:204]
	v_fma_f64 v[46:47], v[34:35], v[191:192], v[193:194]
	v_fma_f64 v[42:43], v[40:41], v[42:43], v[44:45]
	v_add_f64 v[68:69], v[126:127], -v[229:230]
	v_add_f64 v[191:192], v[223:224], -v[70:71]
	v_fma_f64 v[88:89], v[88:89], s[6:7], -v[207:208]
	v_add_f64 v[98:99], v[98:99], v[227:228]
	v_add_f64 v[193:194], v[94:95], v[209:210]
	;; [unrolled: 1-line block ×3, first 2 shown]
	v_fma_f64 v[86:87], v[66:67], v[86:87], -v[38:39]
	v_fma_f64 v[188:189], v[201:202], v[189:190], -v[36:37]
	v_add_f64 v[201:202], v[46:47], -v[42:43]
	v_add_f64 v[66:67], v[68:69], -v[191:192]
	v_add_f64 v[46:47], v[46:47], v[42:43]
	v_add_f64 v[223:224], v[223:224], v[70:71]
	;; [unrolled: 1-line block ×5, first 2 shown]
	v_add_f64 v[34:35], v[98:99], -v[219:220]
	v_add_f64 v[40:41], v[64:65], -v[198:199]
	v_add_f64 v[227:228], v[193:194], v[203:204]
	v_add_f64 v[233:234], v[188:189], v[86:87]
	;; [unrolled: 1-line block ×3, first 2 shown]
	v_mul_f64 v[235:236], v[66:67], s[18:19]
	v_add_f64 v[66:67], v[213:214], -v[116:117]
	v_add_f64 v[64:65], v[219:220], v[98:99]
	v_add_f64 v[98:99], v[46:47], v[223:224]
	;; [unrolled: 1-line block ×4, first 2 shown]
	v_add_f64 v[198:199], v[201:202], -v[68:69]
	v_add_f64 v[42:43], v[88:89], -v[211:212]
	v_add_f64 v[88:89], v[233:234], v[227:228]
	v_add_f64 v[68:69], v[68:69], v[191:192]
	v_add_f64 v[86:87], v[188:189], -v[86:87]
	v_add_f64 v[188:189], v[225:226], -v[215:216]
	;; [unrolled: 1-line block ×3, first 2 shown]
	v_add_f64 v[98:99], v[116:117], v[98:99]
	v_add_f64 v[215:216], v[116:117], -v[223:224]
	v_add_f64 v[94:95], v[94:95], -v[209:210]
	v_add_f64 v[70:71], v[96:97], v[88:89]
	v_add_f64 v[96:97], v[193:194], -v[233:234]
	v_add_f64 v[213:214], v[201:202], v[68:69]
	v_add_f64 v[209:210], v[86:87], -v[188:189]
	v_mul_f64 v[211:212], v[211:212], s[16:17]
	v_add_f64 v[68:69], v[28:29], v[98:99]
	v_add_f64 v[28:29], v[46:47], -v[116:117]
	v_mul_f64 v[116:117], v[215:216], s[16:17]
	v_add_f64 v[215:216], v[94:95], -v[86:87]
	v_add_f64 v[86:87], v[86:87], v[188:189]
	v_add_f64 v[190:191], v[191:192], -v[201:202]
	v_fma_f64 v[88:89], v[88:89], s[20:21], v[70:71]
	v_mul_f64 v[219:220], v[96:97], s[4:5]
	v_mul_f64 v[209:210], v[209:210], s[18:19]
	v_fma_f64 v[96:97], v[96:97], s[4:5], v[211:212]
	v_add_f64 v[188:189], v[188:189], -v[94:95]
	v_mul_f64 v[201:202], v[28:29], s[4:5]
	v_add_f64 v[86:87], v[94:95], v[86:87]
	v_mul_f64 v[94:95], v[190:191], s[2:3]
	v_add_f64 v[192:193], v[203:204], -v[193:194]
	v_add_f64 v[46:47], v[223:224], -v[46:47]
	v_fma_f64 v[126:127], v[198:199], s[24:25], v[235:236]
	v_fma_f64 v[98:99], v[98:99], s[20:21], v[68:69]
	v_fma_f64 v[28:29], v[28:29], s[4:5], v[116:117]
	v_mul_f64 v[194:195], v[188:189], s[2:3]
	v_add_f64 v[223:224], v[96:97], v[88:89]
	v_fma_f64 v[94:95], v[198:199], s[22:23], -v[94:95]
	v_fma_f64 v[96:97], v[192:193], s[8:9], -v[219:220]
	;; [unrolled: 1-line block ×7, first 2 shown]
	v_add_f64 v[28:29], v[28:29], v[98:99]
	v_fma_f64 v[194:195], v[215:216], s[22:23], -v[194:195]
	v_fma_f64 v[225:226], v[215:216], s[24:25], v[209:210]
	v_add_f64 v[198:199], v[198:199], v[98:99]
	v_add_f64 v[201:202], v[192:193], v[88:89]
	v_fma_f64 v[203:204], v[213:214], s[14:15], v[190:191]
	v_add_f64 v[46:47], v[46:47], v[98:99]
	v_fma_f64 v[98:99], v[86:87], s[14:15], v[116:117]
	v_fma_f64 v[126:127], v[213:214], s[14:15], v[126:127]
	;; [unrolled: 1-line block ×5, first 2 shown]
	v_add_f64 v[211:212], v[96:97], v[88:89]
	v_add_f64 v[194:195], v[201:202], -v[203:204]
	v_add_f64 v[203:204], v[203:204], v[201:202]
	v_add_f64 v[192:193], v[98:99], v[46:47]
	v_add_f64 v[201:202], v[46:47], -v[98:99]
	buffer_load_dword v98, off, s[36:39], 0 offset:72 ; 4-byte Folded Reload
	v_add_f64 v[94:95], v[28:29], -v[225:226]
	v_add_f64 v[213:214], v[225:226], v[28:29]
	v_mov_b32_e32 v47, s11
	v_add_f64 v[190:191], v[209:210], v[211:212]
	v_add_f64 v[188:189], v[198:199], -v[215:216]
	v_add_f64 v[211:212], v[211:212], -v[209:210]
	v_add_f64 v[209:210], v[215:216], v[198:199]
	v_add_f64 v[215:216], v[223:224], -v[126:127]
	v_add_f64 v[96:97], v[126:127], v[223:224]
	v_add_f64 v[88:89], v[136:137], -v[221:222]
	v_add_f64 v[86:87], v[217:218], v[231:232]
	v_add_f64 v[207:208], v[221:222], v[136:137]
	v_add_f64 v[205:206], v[231:232], -v[217:218]
	s_waitcnt vmcnt(0)
	v_mul_hi_u32 v46, v98, s0
	v_lshrrev_b32_e32 v28, 8, v46
	v_mul_u32_u24_e32 v28, 0x157, v28
	v_sub_u32_e32 v46, v98, v28
	v_lshlrev_b64 v[28:29], 4, v[80:81]
	v_lshlrev_b32_e32 v46, 4, v46
	v_add_co_u32_e32 v80, vcc, s10, v28
	v_addc_co_u32_e32 v47, vcc, v47, v29, vcc
	v_lshlrev_b64 v[28:29], 4, v[196:197]
	v_add_co_u32_e32 v28, vcc, v80, v28
	v_addc_co_u32_e32 v29, vcc, v47, v29, vcc
	v_add_co_u32_e32 v46, vcc, v28, v46
	v_addc_co_u32_e32 v47, vcc, 0, v29, vcc
	global_store_dwordx4 v[46:47], v[68:71], off
	s_nop 0
	v_add_co_u32_e32 v68, vcc, s28, v46
	v_addc_co_u32_e32 v69, vcc, 0, v47, vcc
	global_store_dwordx4 v[68:69], v[213:216], off offset:1392
	v_add_co_u32_e32 v68, vcc, s30, v46
	v_addc_co_u32_e32 v69, vcc, 0, v47, vcc
	global_store_dwordx4 v[68:69], v[209:212], off offset:2784
	;; [unrolled: 3-line block ×3, first 2 shown]
	v_add_co_u32_e32 v68, vcc, s1, v46
	v_addc_co_u32_e32 v69, vcc, 0, v47, vcc
	s_movk_i32 s1, 0x6000
	global_store_dwordx4 v[68:69], v[192:195], off offset:1472
	v_add_co_u32_e32 v68, vcc, s1, v46
	v_addc_co_u32_e32 v69, vcc, 0, v47, vcc
	global_store_dwordx4 v[68:69], v[188:191], off offset:2864
	v_add_u32_e32 v68, 49, v98
	v_mul_hi_u32 v69, v68, s0
	s_mov_b32 s1, 0x8000
	v_add_co_u32_e32 v46, vcc, s1, v46
	v_addc_co_u32_e32 v47, vcc, 0, v47, vcc
	global_store_dwordx4 v[46:47], v[94:97], off offset:160
	v_lshrrev_b32_e32 v46, 8, v69
	v_mul_u32_u24_e32 v47, 0x157, v46
	v_sub_u32_e32 v47, v68, v47
	s_movk_i32 s1, 0x961
	v_mad_u32_u24 v186, v46, s1, v47
	v_lshlrev_b64 v[46:47], 4, v[186:187]
	v_add_co_u32_e32 v46, vcc, v28, v46
	v_addc_co_u32_e32 v47, vcc, v29, v47, vcc
	global_store_dwordx4 v[46:47], v[30:33], off
	s_nop 0
	v_add_u32_e32 v30, 0x157, v186
	v_mov_b32_e32 v31, v187
	v_lshlrev_b64 v[30:31], 4, v[30:31]
	v_add_u32_e32 v32, 0x62, v98
	v_add_co_u32_e32 v30, vcc, v28, v30
	v_addc_co_u32_e32 v31, vcc, v29, v31, vcc
	global_store_dwordx4 v[30:31], v[86:89], off
	v_add_u32_e32 v30, 0x2ae, v186
	v_mov_b32_e32 v31, v187
	v_lshlrev_b64 v[30:31], 4, v[30:31]
	v_mul_hi_u32 v33, v32, s0
	v_add_co_u32_e32 v30, vcc, v28, v30
	v_addc_co_u32_e32 v31, vcc, v29, v31, vcc
	global_store_dwordx4 v[30:31], v[64:67], off
	v_add_u32_e32 v30, 0x405, v186
	v_mov_b32_e32 v31, v187
	v_lshlrev_b64 v[30:31], 4, v[30:31]
	v_add_co_u32_e32 v30, vcc, v28, v30
	v_addc_co_u32_e32 v31, vcc, v29, v31, vcc
	global_store_dwordx4 v[30:31], v[42:45], off
	v_add_u32_e32 v30, 0x55c, v186
	v_mov_b32_e32 v31, v187
	v_lshlrev_b64 v[30:31], 4, v[30:31]
	v_add_co_u32_e32 v30, vcc, v28, v30
	v_addc_co_u32_e32 v31, vcc, v29, v31, vcc
	global_store_dwordx4 v[30:31], v[38:41], off
	v_add_u32_e32 v30, 0x6b3, v186
	v_mov_b32_e32 v31, v187
	v_lshlrev_b64 v[30:31], 4, v[30:31]
	v_add_u32_e32 v186, 0x80a, v186
	v_add_co_u32_e32 v30, vcc, v28, v30
	v_addc_co_u32_e32 v31, vcc, v29, v31, vcc
	global_store_dwordx4 v[30:31], v[34:37], off
	v_lshlrev_b64 v[30:31], 4, v[186:187]
	v_add_co_u32_e32 v30, vcc, v28, v30
	v_addc_co_u32_e32 v31, vcc, v29, v31, vcc
	global_store_dwordx4 v[30:31], v[205:208], off
	v_lshrrev_b32_e32 v30, 8, v33
	v_mul_u32_u24_e32 v31, 0x157, v30
	v_sub_u32_e32 v31, v32, v31
	v_mad_u32_u24 v186, v30, s1, v31
	v_lshlrev_b64 v[30:31], 4, v[186:187]
	v_add_u32_e32 v32, 0x93, v98
	v_add_co_u32_e32 v30, vcc, v28, v30
	v_addc_co_u32_e32 v31, vcc, v29, v31, vcc
	global_store_dwordx4 v[30:31], v[162:165], off
	v_add_u32_e32 v30, 0x157, v186
	v_mov_b32_e32 v31, v187
	v_lshlrev_b64 v[30:31], 4, v[30:31]
	v_mul_hi_u32 v33, v32, s0
	v_add_co_u32_e32 v30, vcc, v28, v30
	v_addc_co_u32_e32 v31, vcc, v29, v31, vcc
	global_store_dwordx4 v[30:31], v[182:185], off
	v_add_u32_e32 v30, 0x2ae, v186
	v_mov_b32_e32 v31, v187
	v_lshlrev_b64 v[30:31], 4, v[30:31]
	v_add_co_u32_e32 v30, vcc, v28, v30
	v_addc_co_u32_e32 v31, vcc, v29, v31, vcc
	global_store_dwordx4 v[30:31], v[178:181], off
	v_add_u32_e32 v30, 0x405, v186
	v_mov_b32_e32 v31, v187
	v_lshlrev_b64 v[30:31], 4, v[30:31]
	v_add_co_u32_e32 v30, vcc, v28, v30
	v_addc_co_u32_e32 v31, vcc, v29, v31, vcc
	global_store_dwordx4 v[30:31], v[174:177], off
	v_add_u32_e32 v30, 0x55c, v186
	v_mov_b32_e32 v31, v187
	v_lshlrev_b64 v[30:31], 4, v[30:31]
	v_add_co_u32_e32 v30, vcc, v28, v30
	v_addc_co_u32_e32 v31, vcc, v29, v31, vcc
	global_store_dwordx4 v[30:31], v[170:173], off
	v_add_u32_e32 v30, 0x6b3, v186
	v_mov_b32_e32 v31, v187
	v_lshlrev_b64 v[30:31], 4, v[30:31]
	v_add_u32_e32 v186, 0x80a, v186
	v_add_co_u32_e32 v30, vcc, v28, v30
	v_addc_co_u32_e32 v31, vcc, v29, v31, vcc
	global_store_dwordx4 v[30:31], v[166:169], off
	v_lshlrev_b64 v[30:31], 4, v[186:187]
	v_add_co_u32_e32 v30, vcc, v28, v30
	v_addc_co_u32_e32 v31, vcc, v29, v31, vcc
	global_store_dwordx4 v[30:31], v[104:107], off
	v_lshrrev_b32_e32 v30, 8, v33
	v_mul_u32_u24_e32 v31, 0x157, v30
	v_sub_u32_e32 v31, v32, v31
	v_mad_u32_u24 v186, v30, s1, v31
	v_lshlrev_b64 v[30:31], 4, v[186:187]
	v_add_u32_e32 v32, 0xc4, v98
	v_add_co_u32_e32 v30, vcc, v28, v30
	v_addc_co_u32_e32 v31, vcc, v29, v31, vcc
	global_store_dwordx4 v[30:31], v[146:149], off
	v_add_u32_e32 v30, 0x157, v186
	v_mov_b32_e32 v31, v187
	v_lshlrev_b64 v[30:31], 4, v[30:31]
	v_mul_hi_u32 v33, v32, s0
	v_add_co_u32_e32 v30, vcc, v28, v30
	v_addc_co_u32_e32 v31, vcc, v29, v31, vcc
	global_store_dwordx4 v[30:31], v[158:161], off
	v_add_u32_e32 v30, 0x2ae, v186
	v_mov_b32_e32 v31, v187
	v_lshlrev_b64 v[30:31], 4, v[30:31]
	;; [unrolled: 45-line block ×4, first 2 shown]
	v_add_co_u32_e32 v30, vcc, v28, v30
	v_addc_co_u32_e32 v31, vcc, v29, v31, vcc
	global_store_dwordx4 v[30:31], v[76:79], off
	v_add_u32_e32 v30, 0x405, v186
	v_mov_b32_e32 v31, v187
	v_lshlrev_b64 v[30:31], 4, v[30:31]
	v_add_co_u32_e32 v30, vcc, v28, v30
	v_addc_co_u32_e32 v31, vcc, v29, v31, vcc
	global_store_dwordx4 v[30:31], v[72:75], off
	v_add_u32_e32 v30, 0x55c, v186
	v_mov_b32_e32 v31, v187
	v_lshlrev_b64 v[30:31], 4, v[30:31]
	;; [unrolled: 6-line block ×3, first 2 shown]
	v_add_u32_e32 v186, 0x80a, v186
	v_add_co_u32_e32 v30, vcc, v28, v30
	v_addc_co_u32_e32 v31, vcc, v29, v31, vcc
	global_store_dwordx4 v[30:31], v[52:55], off
	v_lshlrev_b64 v[30:31], 4, v[186:187]
	v_add_co_u32_e32 v30, vcc, v28, v30
	v_addc_co_u32_e32 v31, vcc, v29, v31, vcc
	global_store_dwordx4 v[30:31], v[48:51], off
	v_lshrrev_b32_e32 v30, 8, v33
	v_mul_u32_u24_e32 v31, 0x157, v30
	v_sub_u32_e32 v31, v32, v31
	v_mad_u32_u24 v186, v30, s1, v31
	v_lshlrev_b64 v[30:31], 4, v[186:187]
	v_add_co_u32_e32 v30, vcc, v28, v30
	v_addc_co_u32_e32 v31, vcc, v29, v31, vcc
	global_store_dwordx4 v[30:31], v[12:15], off
	s_nop 0
	v_add_u32_e32 v12, 0x157, v186
	v_mov_b32_e32 v13, v187
	v_lshlrev_b64 v[12:13], 4, v[12:13]
	v_add_co_u32_e32 v12, vcc, v28, v12
	v_addc_co_u32_e32 v13, vcc, v29, v13, vcc
	global_store_dwordx4 v[12:13], v[24:27], off
	v_add_u32_e32 v12, 0x2ae, v186
	v_mov_b32_e32 v13, v187
	v_lshlrev_b64 v[12:13], 4, v[12:13]
	v_add_co_u32_e32 v12, vcc, v28, v12
	v_addc_co_u32_e32 v13, vcc, v29, v13, vcc
	global_store_dwordx4 v[12:13], v[20:23], off
	;; [unrolled: 6-line block ×4, first 2 shown]
	s_nop 0
	v_add_u32_e32 v8, 0x6b3, v186
	v_mov_b32_e32 v9, v187
	v_lshlrev_b64 v[8:9], 4, v[8:9]
	v_add_u32_e32 v186, 0x80a, v186
	v_add_co_u32_e32 v8, vcc, v28, v8
	v_addc_co_u32_e32 v9, vcc, v29, v9, vcc
	global_store_dwordx4 v[8:9], v[4:7], off
	s_nop 0
	v_lshlrev_b64 v[4:5], 4, v[186:187]
	v_add_co_u32_e32 v4, vcc, v28, v4
	v_addc_co_u32_e32 v5, vcc, v29, v5, vcc
	global_store_dwordx4 v[4:5], v[0:3], off
.LBB0_15:
	s_endpgm
	.section	.rodata,"a",@progbits
	.p2align	6, 0x0
	.amdhsa_kernel fft_rtc_back_len2401_factors_7_7_7_7_wgs_49_tpt_49_halfLds_dp_op_CI_CI_unitstride_sbrr_dirReg
		.amdhsa_group_segment_fixed_size 0
		.amdhsa_private_segment_fixed_size 80
		.amdhsa_kernarg_size 104
		.amdhsa_user_sgpr_count 6
		.amdhsa_user_sgpr_private_segment_buffer 1
		.amdhsa_user_sgpr_dispatch_ptr 0
		.amdhsa_user_sgpr_queue_ptr 0
		.amdhsa_user_sgpr_kernarg_segment_ptr 1
		.amdhsa_user_sgpr_dispatch_id 0
		.amdhsa_user_sgpr_flat_scratch_init 0
		.amdhsa_user_sgpr_private_segment_size 0
		.amdhsa_uses_dynamic_stack 0
		.amdhsa_system_sgpr_private_segment_wavefront_offset 1
		.amdhsa_system_sgpr_workgroup_id_x 1
		.amdhsa_system_sgpr_workgroup_id_y 0
		.amdhsa_system_sgpr_workgroup_id_z 0
		.amdhsa_system_sgpr_workgroup_info 0
		.amdhsa_system_vgpr_workitem_id 0
		.amdhsa_next_free_vgpr 256
		.amdhsa_next_free_sgpr 40
		.amdhsa_reserve_vcc 1
		.amdhsa_reserve_flat_scratch 0
		.amdhsa_float_round_mode_32 0
		.amdhsa_float_round_mode_16_64 0
		.amdhsa_float_denorm_mode_32 3
		.amdhsa_float_denorm_mode_16_64 3
		.amdhsa_dx10_clamp 1
		.amdhsa_ieee_mode 1
		.amdhsa_fp16_overflow 0
		.amdhsa_exception_fp_ieee_invalid_op 0
		.amdhsa_exception_fp_denorm_src 0
		.amdhsa_exception_fp_ieee_div_zero 0
		.amdhsa_exception_fp_ieee_overflow 0
		.amdhsa_exception_fp_ieee_underflow 0
		.amdhsa_exception_fp_ieee_inexact 0
		.amdhsa_exception_int_div_zero 0
	.end_amdhsa_kernel
	.text
.Lfunc_end0:
	.size	fft_rtc_back_len2401_factors_7_7_7_7_wgs_49_tpt_49_halfLds_dp_op_CI_CI_unitstride_sbrr_dirReg, .Lfunc_end0-fft_rtc_back_len2401_factors_7_7_7_7_wgs_49_tpt_49_halfLds_dp_op_CI_CI_unitstride_sbrr_dirReg
                                        ; -- End function
	.section	.AMDGPU.csdata,"",@progbits
; Kernel info:
; codeLenInByte = 32308
; NumSgprs: 44
; NumVgprs: 256
; ScratchSize: 80
; MemoryBound: 1
; FloatMode: 240
; IeeeMode: 1
; LDSByteSize: 0 bytes/workgroup (compile time only)
; SGPRBlocks: 5
; VGPRBlocks: 63
; NumSGPRsForWavesPerEU: 44
; NumVGPRsForWavesPerEU: 256
; Occupancy: 1
; WaveLimiterHint : 1
; COMPUTE_PGM_RSRC2:SCRATCH_EN: 1
; COMPUTE_PGM_RSRC2:USER_SGPR: 6
; COMPUTE_PGM_RSRC2:TRAP_HANDLER: 0
; COMPUTE_PGM_RSRC2:TGID_X_EN: 1
; COMPUTE_PGM_RSRC2:TGID_Y_EN: 0
; COMPUTE_PGM_RSRC2:TGID_Z_EN: 0
; COMPUTE_PGM_RSRC2:TIDIG_COMP_CNT: 0
	.type	__hip_cuid_e2ff75352d0a7b0d,@object ; @__hip_cuid_e2ff75352d0a7b0d
	.section	.bss,"aw",@nobits
	.globl	__hip_cuid_e2ff75352d0a7b0d
__hip_cuid_e2ff75352d0a7b0d:
	.byte	0                               ; 0x0
	.size	__hip_cuid_e2ff75352d0a7b0d, 1

	.ident	"AMD clang version 19.0.0git (https://github.com/RadeonOpenCompute/llvm-project roc-6.4.0 25133 c7fe45cf4b819c5991fe208aaa96edf142730f1d)"
	.section	".note.GNU-stack","",@progbits
	.addrsig
	.addrsig_sym __hip_cuid_e2ff75352d0a7b0d
	.amdgpu_metadata
---
amdhsa.kernels:
  - .args:
      - .actual_access:  read_only
        .address_space:  global
        .offset:         0
        .size:           8
        .value_kind:     global_buffer
      - .offset:         8
        .size:           8
        .value_kind:     by_value
      - .actual_access:  read_only
        .address_space:  global
        .offset:         16
        .size:           8
        .value_kind:     global_buffer
      - .actual_access:  read_only
        .address_space:  global
        .offset:         24
        .size:           8
        .value_kind:     global_buffer
      - .actual_access:  read_only
        .address_space:  global
        .offset:         32
        .size:           8
        .value_kind:     global_buffer
      - .offset:         40
        .size:           8
        .value_kind:     by_value
      - .actual_access:  read_only
        .address_space:  global
        .offset:         48
        .size:           8
        .value_kind:     global_buffer
      - .actual_access:  read_only
        .address_space:  global
        .offset:         56
        .size:           8
        .value_kind:     global_buffer
      - .offset:         64
        .size:           4
        .value_kind:     by_value
      - .actual_access:  read_only
        .address_space:  global
        .offset:         72
        .size:           8
        .value_kind:     global_buffer
      - .actual_access:  read_only
        .address_space:  global
        .offset:         80
        .size:           8
        .value_kind:     global_buffer
      - .actual_access:  read_only
        .address_space:  global
        .offset:         88
        .size:           8
        .value_kind:     global_buffer
      - .actual_access:  write_only
        .address_space:  global
        .offset:         96
        .size:           8
        .value_kind:     global_buffer
    .group_segment_fixed_size: 0
    .kernarg_segment_align: 8
    .kernarg_segment_size: 104
    .language:       OpenCL C
    .language_version:
      - 2
      - 0
    .max_flat_workgroup_size: 49
    .name:           fft_rtc_back_len2401_factors_7_7_7_7_wgs_49_tpt_49_halfLds_dp_op_CI_CI_unitstride_sbrr_dirReg
    .private_segment_fixed_size: 80
    .sgpr_count:     44
    .sgpr_spill_count: 0
    .symbol:         fft_rtc_back_len2401_factors_7_7_7_7_wgs_49_tpt_49_halfLds_dp_op_CI_CI_unitstride_sbrr_dirReg.kd
    .uniform_work_group_size: 1
    .uses_dynamic_stack: false
    .vgpr_count:     256
    .vgpr_spill_count: 24
    .wavefront_size: 64
amdhsa.target:   amdgcn-amd-amdhsa--gfx906
amdhsa.version:
  - 1
  - 2
...

	.end_amdgpu_metadata
